;; amdgpu-corpus repo=zjin-lcf/HeCBench kind=compiled arch=gfx1030 opt=O3
	.amdgcn_target "amdgcn-amd-amdhsa--gfx1030"
	.amdhsa_code_object_version 6
	.text
	.protected	_Z16shuffling_kernelPhPKhjj ; -- Begin function _Z16shuffling_kernelPhPKhjj
	.globl	_Z16shuffling_kernelPhPKhjj
	.p2align	8
	.type	_Z16shuffling_kernelPhPKhjj,@function
_Z16shuffling_kernelPhPKhjj:            ; @_Z16shuffling_kernelPhPKhjj
; %bb.0:
	s_clause 0x2
	s_load_dword s7, s[4:5], 0x24
	s_load_dwordx2 s[8:9], s[4:5], 0x10
	s_load_dwordx4 s[0:3], s[4:5], 0x0
	v_mov_b32_e32 v2, 0
	v_mov_b32_e32 v7, 0
	v_mov_b32_e32 v3, 0
	s_waitcnt lgkmcnt(0)
	s_and_b32 s4, s7, 0xffff
	v_mad_u64_u32 v[4:5], null, s6, s4, v[0:1]
	v_sub_co_u32 v0, s5, s8, 1
	s_and_b32 vcc_lo, exec_lo, s5
	v_readfirstlane_b32 s4, v0
	v_add_co_u32 v0, s6, s0, v4
	v_add_co_ci_u32_e64 v1, null, s1, 0, s6
	s_cbranch_vccnz .LBB0_3
; %bb.1:
	v_mov_b32_e32 v2, 0
	v_mov_b32_e32 v6, v1
	;; [unrolled: 1-line block ×4, first 2 shown]
	s_mov_b32 s7, 0
	s_mov_b32 s6, s8
	;; [unrolled: 1-line block ×3, first 2 shown]
	.p2align	6
.LBB0_2:                                ; =>This Inner Loop Header: Depth=1
	global_load_ubyte v8, v7, s[2:3]
	s_add_u32 s6, s6, -1
	s_addc_u32 s7, s7, -1
	s_add_u32 s2, s2, 1
	s_addc_u32 s3, s3, 0
	s_cmp_lg_u64 s[6:7], 0
	s_waitcnt vmcnt(0)
	global_store_byte v[5:6], v8, off
	v_and_b32_e32 v8, 0xff, v8
	v_add_co_u32 v5, vcc_lo, v5, s5
	v_add_co_ci_u32_e64 v6, null, 0, v6, vcc_lo
	v_add_co_u32 v2, vcc_lo, v2, v8
	v_add_co_ci_u32_e64 v3, null, 0, v3, vcc_lo
	s_cbranch_scc1 .LBB0_2
.LBB0_3:
	s_cmp_eq_u32 s4, 0
	s_mov_b32 s5, 0
	s_cbranch_scc1 .LBB0_8
; %bb.4:
	s_mul_i32 s2, s9, s4
	s_mul_hi_u32 s3, s9, s4
	s_add_u32 s0, s0, s2
	v_xor_b32_e32 v2, v2, v4
	s_addc_u32 s1, s1, s3
	v_add_co_u32 v4, s0, s0, v4
	v_add_co_ci_u32_e64 v5, null, s1, 0, s0
	v_mov_b32_e32 v7, 0
	s_sub_u32 s1, 0, s9
	s_mov_b32 s0, s9
	s_subb_u32 s2, 0, 0
	s_branch .LBB0_6
.LBB0_5:                                ;   in Loop: Header=BB0_6 Depth=1
	s_or_b32 exec_lo, exec_lo, s3
	v_mad_u64_u32 v[10:11], null, v6, s0, v[0:1]
	v_mul_lo_u32 v2, 0x26f19d38, v2
	v_mul_lo_u32 v3, 0xe48e2825, v3
	s_add_u32 s4, s4, -1
	s_addc_u32 s5, s5, -1
	global_load_ubyte v6, v[4:5], off
	global_load_ubyte v12, v[10:11], off
	s_cmp_lg_u64 s[4:5], 0
	s_waitcnt vmcnt(1)
	global_store_byte v[10:11], v6, off
	s_waitcnt vmcnt(0)
	global_store_byte v[4:5], v12, off
	v_add3_u32 v9, v3, v9, v2
	v_add_co_u32 v4, vcc_lo, v4, s1
	v_mov_b32_e32 v2, v8
	v_add_co_ci_u32_e64 v5, null, s2, v5, vcc_lo
	v_mov_b32_e32 v3, v9
	s_cbranch_scc0 .LBB0_8
.LBB0_6:                                ; =>This Inner Loop Header: Depth=1
	v_mad_u64_u32 v[8:9], null, 0xe48e2825, v2, 1
	s_mov_b32 s3, exec_lo
	v_mov_b32_e32 v6, v8
	v_cmpx_le_u64_e64 s[4:5], v[6:7]
	s_cbranch_execz .LBB0_5
; %bb.7:                                ;   in Loop: Header=BB0_6 Depth=1
	v_cvt_f32_u32_e32 v10, s4
	s_sub_i32 s6, 0, s4
	v_rcp_iflag_f32_e32 v10, v10
	v_mul_f32_e32 v10, 0x4f7ffffe, v10
	v_cvt_u32_f32_e32 v10, v10
	v_mul_lo_u32 v11, s6, v10
	v_mul_hi_u32 v11, v10, v11
	v_add_nc_u32_e32 v10, v10, v11
	v_mul_hi_u32 v10, v6, v10
	v_mul_lo_u32 v10, v10, s4
	v_sub_nc_u32_e32 v6, v6, v10
	v_subrev_nc_u32_e32 v10, s4, v6
	v_cmp_le_u32_e32 vcc_lo, s4, v6
	v_cndmask_b32_e32 v6, v6, v10, vcc_lo
	v_subrev_nc_u32_e32 v10, s4, v6
	v_cmp_le_u32_e32 vcc_lo, s4, v6
	v_cndmask_b32_e32 v6, v6, v10, vcc_lo
	s_branch .LBB0_5
.LBB0_8:
	s_endpgm
	.section	.rodata,"a",@progbits
	.p2align	6, 0x0
	.amdhsa_kernel _Z16shuffling_kernelPhPKhjj
		.amdhsa_group_segment_fixed_size 0
		.amdhsa_private_segment_fixed_size 0
		.amdhsa_kernarg_size 280
		.amdhsa_user_sgpr_count 6
		.amdhsa_user_sgpr_private_segment_buffer 1
		.amdhsa_user_sgpr_dispatch_ptr 0
		.amdhsa_user_sgpr_queue_ptr 0
		.amdhsa_user_sgpr_kernarg_segment_ptr 1
		.amdhsa_user_sgpr_dispatch_id 0
		.amdhsa_user_sgpr_flat_scratch_init 0
		.amdhsa_user_sgpr_private_segment_size 0
		.amdhsa_wavefront_size32 1
		.amdhsa_uses_dynamic_stack 0
		.amdhsa_system_sgpr_private_segment_wavefront_offset 0
		.amdhsa_system_sgpr_workgroup_id_x 1
		.amdhsa_system_sgpr_workgroup_id_y 0
		.amdhsa_system_sgpr_workgroup_id_z 0
		.amdhsa_system_sgpr_workgroup_info 0
		.amdhsa_system_vgpr_workitem_id 0
		.amdhsa_next_free_vgpr 13
		.amdhsa_next_free_sgpr 10
		.amdhsa_reserve_vcc 1
		.amdhsa_reserve_flat_scratch 0
		.amdhsa_float_round_mode_32 0
		.amdhsa_float_round_mode_16_64 0
		.amdhsa_float_denorm_mode_32 3
		.amdhsa_float_denorm_mode_16_64 3
		.amdhsa_dx10_clamp 1
		.amdhsa_ieee_mode 1
		.amdhsa_fp16_overflow 0
		.amdhsa_workgroup_processor_mode 1
		.amdhsa_memory_ordered 1
		.amdhsa_forward_progress 1
		.amdhsa_shared_vgpr_count 0
		.amdhsa_exception_fp_ieee_invalid_op 0
		.amdhsa_exception_fp_denorm_src 0
		.amdhsa_exception_fp_ieee_div_zero 0
		.amdhsa_exception_fp_ieee_overflow 0
		.amdhsa_exception_fp_ieee_underflow 0
		.amdhsa_exception_fp_ieee_inexact 0
		.amdhsa_exception_int_div_zero 0
	.end_amdhsa_kernel
	.text
.Lfunc_end0:
	.size	_Z16shuffling_kernelPhPKhjj, .Lfunc_end0-_Z16shuffling_kernelPhPKhjj
                                        ; -- End function
	.set _Z16shuffling_kernelPhPKhjj.num_vgpr, 13
	.set _Z16shuffling_kernelPhPKhjj.num_agpr, 0
	.set _Z16shuffling_kernelPhPKhjj.numbered_sgpr, 10
	.set _Z16shuffling_kernelPhPKhjj.num_named_barrier, 0
	.set _Z16shuffling_kernelPhPKhjj.private_seg_size, 0
	.set _Z16shuffling_kernelPhPKhjj.uses_vcc, 1
	.set _Z16shuffling_kernelPhPKhjj.uses_flat_scratch, 0
	.set _Z16shuffling_kernelPhPKhjj.has_dyn_sized_stack, 0
	.set _Z16shuffling_kernelPhPKhjj.has_recursion, 0
	.set _Z16shuffling_kernelPhPKhjj.has_indirect_call, 0
	.section	.AMDGPU.csdata,"",@progbits
; Kernel info:
; codeLenInByte = 532
; TotalNumSgprs: 12
; NumVgprs: 13
; ScratchSize: 0
; MemoryBound: 0
; FloatMode: 240
; IeeeMode: 1
; LDSByteSize: 0 bytes/workgroup (compile time only)
; SGPRBlocks: 0
; VGPRBlocks: 1
; NumSGPRsForWavesPerEU: 12
; NumVGPRsForWavesPerEU: 13
; Occupancy: 16
; WaveLimiterHint : 0
; COMPUTE_PGM_RSRC2:SCRATCH_EN: 0
; COMPUTE_PGM_RSRC2:USER_SGPR: 6
; COMPUTE_PGM_RSRC2:TRAP_HANDLER: 0
; COMPUTE_PGM_RSRC2:TGID_X_EN: 1
; COMPUTE_PGM_RSRC2:TGID_Y_EN: 0
; COMPUTE_PGM_RSRC2:TGID_Z_EN: 0
; COMPUTE_PGM_RSRC2:TIDIG_COMP_CNT: 0
	.text
	.protected	_Z24statistical_tests_kernelPjPKdddPKhjjjj ; -- Begin function _Z24statistical_tests_kernelPjPKdddPKhjjjj
	.globl	_Z24statistical_tests_kernelPjPKdddPKhjjjj
	.p2align	8
	.type	_Z24statistical_tests_kernelPjPKdddPKhjjjj,@function
_Z24statistical_tests_kernelPjPKdddPKhjjjj: ; @_Z24statistical_tests_kernelPjPKdddPKhjjjj
; %bb.0:
	s_clause 0x1
	s_load_dwordx4 s[16:19], s[4:5], 0x28
	s_load_dwordx2 s[20:21], s[4:5], 0x20
	s_add_u32 s0, s0, s7
	s_addc_u32 s1, s1, 0
	s_load_dword s22, s[4:5], 0x44
	s_waitcnt lgkmcnt(0)
	v_cvt_f32_u32_e32 v1, s19
	s_sub_i32 s8, 0, s19
	v_rcp_iflag_f32_e32 v1, v1
	v_mul_f32_e32 v1, 0x4f7ffffe, v1
	v_cvt_u32_f32_e32 v1, v1
	v_readfirstlane_b32 s7, v1
	s_mul_i32 s8, s8, s7
	s_mul_hi_u32 s8, s7, s8
	s_add_i32 s7, s7, s8
	s_mul_hi_u32 s7, s6, s7
	s_mul_i32 s8, s7, s19
	s_add_i32 s24, s7, 1
	s_sub_i32 s23, s6, s8
	s_load_dwordx8 s[8:15], s[4:5], 0x0
	s_sub_i32 s25, s23, s19
	s_cmp_ge_u32 s23, s19
	s_cselect_b32 s4, s24, s7
	s_cselect_b32 s5, s25, s23
	s_add_i32 s7, s4, 1
	s_cmp_ge_u32 s5, s19
	s_cselect_b32 s5, s7, s4
	s_and_b32 s7, s22, 0xffff
	s_mul_i32 s4, s5, s19
	s_sub_i32 s4, s6, s4
	s_cmp_le_u32 s19, s6
	v_mad_u64_u32 v[0:1], null, s4, s7, v[0:1]
	s_mov_b32 s4, 0
	s_cbranch_scc0 .LBB1_6
; %bb.1:
	s_mov_b32 s24, 0
	s_cmp_eq_u32 s5, 1
                                        ; implicit-def: $vgpr1_vgpr2
	s_cbranch_scc0 .LBB1_7
; %bb.2:
	s_cmp_eq_u32 s17, 0
	s_mov_b32 s7, 0
	s_cbranch_scc1 .LBB1_10
; %bb.3:
	v_add_co_u32 v5, s4, s20, v0
	v_mov_b32_e32 v1, 0
	v_mov_b32_e32 v3, 0
	;; [unrolled: 1-line block ×4, first 2 shown]
	v_add_co_ci_u32_e64 v6, null, s21, 0, s4
	s_mov_b32 s6, s17
	s_mov_b64 s[22:23], 0
	.p2align	6
.LBB1_4:                                ; =>This Inner Loop Header: Depth=1
	global_load_ubyte v11, v[5:6], off
	s_add_u32 s22, s22, 1
	s_addc_u32 s23, s23, 0
	v_cvt_f64_u32_e32 v[9:10], s22
	v_cvt_f64_u32_e32 v[7:8], s23
	v_add_co_u32 v5, s4, v5, s18
	v_add_co_ci_u32_e64 v6, null, 0, v6, s4
	s_cmp_lg_u64 s[6:7], s[22:23]
	v_ldexp_f64 v[7:8], v[7:8], 32
	v_add_f64 v[7:8], v[7:8], v[9:10]
	s_waitcnt vmcnt(0)
	v_cvt_f64_u32_e32 v[11:12], v11
	v_add_f64 v[1:2], v[1:2], v[11:12]
	s_waitcnt lgkmcnt(0)
	v_fma_f64 v[7:8], -s[12:13], v[7:8], v[1:2]
	v_cmp_lt_f64_e64 vcc_lo, v[3:4], |v[7:8]|
	v_and_b32_e32 v9, 0x7fffffff, v8
	v_cndmask_b32_e32 v4, v4, v9, vcc_lo
	v_cndmask_b32_e32 v3, v3, v7, vcc_lo
	s_cbranch_scc1 .LBB1_4
; %bb.5:
	v_cvt_f32_f64_e32 v3, v[3:4]
	s_branch .LBB1_11
.LBB1_6:
	s_mov_b32 s24, -1
                                        ; implicit-def: $vgpr1_vgpr2
.LBB1_7:
	s_and_b32 vcc_lo, exec_lo, s24
	s_cbranch_vccnz .LBB1_55
.LBB1_8:
	s_and_b32 vcc_lo, exec_lo, s4
	s_cbranch_vccnz .LBB1_78
.LBB1_9:
	s_endpgm
.LBB1_10:
	v_mov_b32_e32 v3, 0
.LBB1_11:
	s_waitcnt lgkmcnt(0)
	s_load_dwordx2 s[4:5], s[10:11], 0x0
	v_mov_b32_e32 v1, s8
	v_mov_b32_e32 v2, s9
	s_waitcnt lgkmcnt(0)
	v_cvt_f32_f64_e32 v4, s[4:5]
	s_mov_b32 s4, exec_lo
	v_cmpx_ngt_f32_e32 v3, v4
	s_cbranch_execz .LBB1_15
; %bb.12:
	s_add_u32 s6, s8, 4
	s_addc_u32 s7, s9, 0
	v_mov_b32_e32 v1, s6
	v_mov_b32_e32 v2, s7
	s_mov_b32 s5, exec_lo
	v_cmpx_neq_f32_e32 v3, v4
	s_xor_b32 s5, exec_lo, s5
; %bb.13:
	s_add_u32 s6, s8, 8
	s_addc_u32 s7, s9, 0
	v_mov_b32_e32 v1, s6
	v_mov_b32_e32 v2, s7
; %bb.14:
	s_andn2_saveexec_b32 s5, s5
	s_or_b32 exec_lo, exec_lo, s5
.LBB1_15:
	s_or_b32 exec_lo, exec_lo, s4
	v_mov_b32_e32 v16, 1
	v_mov_b32_e32 v15, 0
	s_mov_b32 s5, 0
	global_atomic_add v[1:2], v16, off
	global_load_ubyte v3, v0, s[20:21]
	v_add_nc_u32_e32 v1, s18, v0
	global_load_ubyte v4, v1, s[20:21]
	s_waitcnt vmcnt(1)
	v_and_b32_e32 v1, 0xffff, v3
	v_cvt_f64_u32_e32 v[1:2], v1
	s_waitcnt vmcnt(0)
	v_cmp_le_u16_e64 s22, v3, v4
	v_cmp_le_f64_e64 s23, s[14:15], v[1:2]
	v_add_co_u32 v1, s4, s20, v0
	v_add_co_ci_u32_e64 v2, null, s21, 0, s4
	s_add_i32 s4, s17, -1
	s_cmp_lt_u32 s4, 2
	s_cbranch_scc1 .LBB1_31
; %bb.16:
	v_mov_b32_e32 v7, 0
	v_mov_b32_e32 v9, 0
	;; [unrolled: 1-line block ×12, first 2 shown]
	s_mov_b32 s19, s5
	s_add_u32 s6, s4, -1
	s_addc_u32 s7, 0, -1
	s_lshl_b64 s[12:13], s[18:19], 1
.LBB1_17:                               ; =>This Inner Loop Header: Depth=1
	v_mov_b32_e32 v14, v12
	v_mov_b32_e32 v13, v11
	v_add_co_u32 v11, vcc_lo, v13, s18
	v_add_co_ci_u32_e64 v12, null, 0, v14, vcc_lo
	v_add_co_u32 v13, vcc_lo, v13, s12
	v_add_co_ci_u32_e64 v14, null, s13, v14, vcc_lo
	s_clause 0x1
	global_load_ubyte v18, v[11:12], off
	global_load_ubyte v13, v[13:14], off
	s_waitcnt vmcnt(0)
	v_cmp_le_u16_e64 s19, v18, v13
	s_xor_b32 s25, s22, s19
	s_xor_b32 s25, s25, -1
	s_and_saveexec_b32 s26, s25
	s_xor_b32 s25, exec_lo, s26
; %bb.18:                               ;   in Loop: Header=BB1_17 Depth=1
	v_add_nc_u32_e32 v17, 1, v17
; %bb.19:                               ;   in Loop: Header=BB1_17 Depth=1
	s_andn2_saveexec_b32 s25, s25
	s_cbranch_execz .LBB1_23
; %bb.20:                               ;   in Loop: Header=BB1_17 Depth=1
	v_cvt_f64_u32_e32 v[13:14], v17
	s_mov_b32 s26, exec_lo
	v_cmpx_lt_f64_e32 v[7:8], v[13:14]
; %bb.21:                               ;   in Loop: Header=BB1_17 Depth=1
	v_mov_b32_e32 v7, v13
	v_mov_b32_e32 v8, v14
; %bb.22:                               ;   in Loop: Header=BB1_17 Depth=1
	s_or_b32 exec_lo, exec_lo, s26
	v_add_f64 v[9:10], v[9:10], 1.0
	v_mov_b32_e32 v17, 1
.LBB1_23:                               ;   in Loop: Header=BB1_17 Depth=1
	s_or_b32 exec_lo, exec_lo, s25
	v_and_b32_e32 v13, 0xffff, v18
	v_cvt_f64_u32_e32 v[13:14], v13
	v_cmp_le_f64_e64 s25, s[14:15], v[13:14]
	s_xor_b32 s23, s23, s25
	s_xor_b32 s23, s23, -1
	s_and_saveexec_b32 s26, s23
	s_xor_b32 s23, exec_lo, s26
; %bb.24:                               ;   in Loop: Header=BB1_17 Depth=1
	v_add_nc_u32_e32 v16, 1, v16
; %bb.25:                               ;   in Loop: Header=BB1_17 Depth=1
	s_andn2_saveexec_b32 s23, s23
	s_cbranch_execz .LBB1_29
; %bb.26:                               ;   in Loop: Header=BB1_17 Depth=1
	v_cvt_f64_u32_e32 v[13:14], v16
	s_mov_b32 s26, exec_lo
	v_cmpx_lt_f64_e32 v[3:4], v[13:14]
; %bb.27:                               ;   in Loop: Header=BB1_17 Depth=1
	v_mov_b32_e32 v3, v13
	v_mov_b32_e32 v4, v14
; %bb.28:                               ;   in Loop: Header=BB1_17 Depth=1
	s_or_b32 exec_lo, exec_lo, s26
	v_add_f64 v[5:6], v[5:6], 1.0
	v_mov_b32_e32 v16, 1
.LBB1_29:                               ;   in Loop: Header=BB1_17 Depth=1
	s_or_b32 exec_lo, exec_lo, s23
	v_cndmask_b32_e64 v13, 0, 1, s22
	s_add_u32 s6, s6, -1
	s_addc_u32 s7, s7, -1
	s_cmp_lg_u64 s[6:7], 0
	v_add_nc_u32_e32 v15, v15, v13
	s_cbranch_scc0 .LBB1_32
; %bb.30:                               ;   in Loop: Header=BB1_17 Depth=1
	s_mov_b32 s22, s19
	s_mov_b32 s23, s25
	s_branch .LBB1_17
.LBB1_31:
	v_mov_b32_e32 v3, 0
	v_mov_b32_e32 v11, 0
	;; [unrolled: 1-line block ×10, first 2 shown]
	s_branch .LBB1_33
.LBB1_32:
	v_cvt_f64_u32_e32 v[11:12], v16
	s_mov_b32 s22, s19
	s_mov_b32 s23, s25
.LBB1_33:
	v_mad_u64_u32 v[13:14], null, s4, s18, v[0:1]
	global_load_ubyte v13, v13, s[20:21]
	s_waitcnt vmcnt(0)
	v_cvt_f64_u32_e32 v[13:14], v13
	v_cmp_nle_f64_e32 vcc_lo, s[14:15], v[13:14]
	s_xor_b32 s6, s23, vcc_lo
	s_xor_b32 s7, s6, -1
	s_and_saveexec_b32 s6, s7
	s_cbranch_execz .LBB1_37
; %bb.34:
	s_mov_b32 s7, exec_lo
	v_cmpx_lt_f64_e32 v[3:4], v[11:12]
; %bb.35:
	v_mov_b32_e32 v3, v11
	v_mov_b32_e32 v4, v12
; %bb.36:
	s_or_b32 exec_lo, exec_lo, s7
	v_add_f64 v[5:6], v[5:6], 1.0
.LBB1_37:
	s_or_b32 exec_lo, exec_lo, s6
	v_mov_b32_e32 v13, 0
	s_cmp_eq_u32 s17, 1
	global_load_dwordx2 v[11:12], v13, s[10:11] offset:8
	s_waitcnt vmcnt(0)
	v_cmp_eq_f64_e32 vcc_lo, v[9:10], v[11:12]
	v_cndmask_b32_e64 v14, 20, 16, vcc_lo
	v_cmp_ngt_f64_e32 vcc_lo, v[9:10], v[11:12]
	v_mov_b32_e32 v11, 1
	v_cndmask_b32_e32 v9, 12, v14, vcc_lo
	v_add_co_u32 v9, s6, s8, v9
	v_add_co_ci_u32_e64 v10, null, s9, 0, s6
	global_atomic_add v[9:10], v11, off
	global_load_dwordx2 v[9:10], v13, s[10:11] offset:16
	s_waitcnt vmcnt(0)
	v_cmp_eq_f64_e32 vcc_lo, v[7:8], v[9:10]
	v_cndmask_b32_e64 v12, 32, 28, vcc_lo
	v_cmp_ngt_f64_e32 vcc_lo, v[7:8], v[9:10]
	v_cndmask_b32_e64 v9, 0, 1, s22
	v_add_nc_u32_e32 v9, v15, v9
	v_sub_nc_u32_e32 v10, s17, v9
	v_max_u32_e32 v9, v9, v10
	v_cvt_f64_u32_e32 v[9:10], v9
	v_cndmask_b32_e32 v7, 24, v12, vcc_lo
	v_add_co_u32 v7, s6, s8, v7
	v_add_co_ci_u32_e64 v8, null, s9, 0, s6
	global_atomic_add v[7:8], v11, off
	global_load_dwordx2 v[7:8], v13, s[10:11] offset:24
	s_waitcnt vmcnt(0)
	v_cmp_eq_f64_e32 vcc_lo, v[7:8], v[9:10]
	v_cndmask_b32_e64 v12, 44, 40, vcc_lo
	v_cmp_nlt_f64_e32 vcc_lo, v[7:8], v[9:10]
	v_cndmask_b32_e32 v7, 36, v12, vcc_lo
	v_add_co_u32 v7, s6, s8, v7
	v_add_co_ci_u32_e64 v8, null, s9, 0, s6
	global_atomic_add v[7:8], v11, off
	global_load_dwordx2 v[7:8], v13, s[10:11] offset:32
	s_waitcnt vmcnt(0)
	v_cmp_eq_f64_e32 vcc_lo, v[5:6], v[7:8]
	v_cndmask_b32_e64 v9, 56, 52, vcc_lo
	v_cmp_ngt_f64_e32 vcc_lo, v[5:6], v[7:8]
	v_cndmask_b32_e32 v5, 48, v9, vcc_lo
	v_add_co_u32 v5, s6, s8, v5
	v_add_co_ci_u32_e64 v6, null, s9, 0, s6
	global_atomic_add v[5:6], v11, off
	global_load_dwordx2 v[5:6], v13, s[10:11] offset:40
	s_waitcnt vmcnt(0)
	v_cmp_eq_f64_e32 vcc_lo, v[3:4], v[5:6]
	v_cndmask_b32_e64 v7, 0x44, 64, vcc_lo
	v_cmp_ngt_f64_e32 vcc_lo, v[3:4], v[5:6]
	v_mov_b32_e32 v5, 0
	v_mov_b32_e32 v6, 0
	v_cndmask_b32_e32 v3, 60, v7, vcc_lo
	v_add_co_u32 v3, s6, s8, v3
	v_add_co_ci_u32_e64 v4, null, s9, 0, s6
	global_atomic_add v[3:4], v11, off
	v_mov_b32_e32 v3, 0
	v_mov_b32_e32 v4, 0
	s_cbranch_scc1 .LBB1_40
; %bb.38:
	global_load_ubyte v9, v[1:2], off
	v_mov_b32_e32 v3, 0
	v_mov_b32_e32 v5, 0
	;; [unrolled: 1-line block ×6, first 2 shown]
	.p2align	6
.LBB1_39:                               ; =>This Inner Loop Header: Depth=1
	v_add_co_u32 v7, vcc_lo, v7, s18
	v_add_co_ci_u32_e64 v8, null, 0, v8, vcc_lo
	v_add_f64 v[12:13], v[5:6], 1.0
	s_add_u32 s4, s4, -1
	s_addc_u32 s5, s5, -1
	global_load_ubyte v14, v[7:8], off
	s_cmp_lg_u64 s[4:5], 0
	s_waitcnt vmcnt(0)
	v_mul_u32_u24_sdwa v10, v14, v9 dst_sel:DWORD dst_unused:UNUSED_PAD src0_sel:WORD_0 src1_sel:BYTE_0
	v_cmp_eq_u16_sdwa vcc_lo, v9, v14 src0_sel:BYTE_0 src1_sel:DWORD
	v_mov_b32_e32 v9, v14
	v_cvt_f64_u32_e32 v[10:11], v10
	v_cndmask_b32_e32 v6, v6, v13, vcc_lo
	v_cndmask_b32_e32 v5, v5, v12, vcc_lo
	v_add_f64 v[3:4], v[3:4], v[10:11]
	s_cbranch_scc1 .LBB1_39
.LBB1_40:
	v_mov_b32_e32 v9, 0
	v_mov_b32_e32 v10, 0x64
	s_cmp_eq_u32 s17, 2
	global_load_dwordx2 v[7:8], v9, s[10:11] offset:64
	s_waitcnt vmcnt(0)
	v_cmp_eq_f64_e32 vcc_lo, v[5:6], v[7:8]
	v_cndmask_b32_e32 v10, 0x68, v10, vcc_lo
	v_cmp_ngt_f64_e32 vcc_lo, v[5:6], v[7:8]
	v_mov_b32_e32 v7, 1
	v_mov_b32_e32 v8, 0xa0
	v_cndmask_b32_e32 v5, 0x60, v10, vcc_lo
	v_add_co_u32 v5, s4, s8, v5
	v_add_co_ci_u32_e64 v6, null, s9, 0, s4
	global_atomic_add v[5:6], v7, off
	global_load_dwordx2 v[5:6], v9, s[10:11] offset:104
	s_waitcnt vmcnt(0)
	v_cmp_eq_f64_e32 vcc_lo, v[3:4], v[5:6]
	v_cndmask_b32_e32 v8, 0xa4, v8, vcc_lo
	v_cmp_ngt_f64_e32 vcc_lo, v[3:4], v[5:6]
	v_mov_b32_e32 v5, 0
	v_mov_b32_e32 v6, 0
	v_cndmask_b32_e32 v3, 0x9c, v8, vcc_lo
	v_add_co_u32 v3, s4, s8, v3
	v_add_co_ci_u32_e64 v4, null, s9, 0, s4
	global_atomic_add v[3:4], v7, off
	v_mov_b32_e32 v3, 0
	v_mov_b32_e32 v4, 0
	s_cbranch_scc1 .LBB1_43
; %bb.41:
	s_mov_b32 s7, 0
	v_mov_b32_e32 v3, 0
	v_mov_b32_e32 v5, 0
	v_mov_b32_e32 v8, v2
	v_mov_b32_e32 v4, 0
	v_mov_b32_e32 v6, 0
	v_mov_b32_e32 v7, v1
	s_mov_b32 s19, s7
	s_add_i32 s6, s17, -2
	s_lshl_b64 s[12:13], s[18:19], 1
	.p2align	6
.LBB1_42:                               ; =>This Inner Loop Header: Depth=1
	v_add_co_u32 v9, vcc_lo, v7, s12
	v_add_co_ci_u32_e64 v10, null, s13, v8, vcc_lo
	v_add_f64 v[11:12], v[5:6], 1.0
	s_add_u32 s6, s6, -1
	s_clause 0x1
	global_load_ubyte v13, v[7:8], off
	global_load_ubyte v14, v[9:10], off
	v_add_co_u32 v7, s4, v7, s18
	v_add_co_ci_u32_e64 v8, null, 0, v8, s4
	s_addc_u32 s7, s7, -1
	s_cmp_lg_u64 s[6:7], 0
	s_waitcnt vmcnt(0)
	v_mul_u32_u24_sdwa v9, v14, v13 dst_sel:DWORD dst_unused:UNUSED_PAD src0_sel:BYTE_0 src1_sel:WORD_0
	v_cmp_eq_u16_e32 vcc_lo, v13, v14
	v_cvt_f64_u32_e32 v[9:10], v9
	v_cndmask_b32_e32 v6, v6, v12, vcc_lo
	v_cndmask_b32_e32 v5, v5, v11, vcc_lo
	v_add_f64 v[3:4], v[3:4], v[9:10]
	s_cbranch_scc1 .LBB1_42
.LBB1_43:
	v_mov_b32_e32 v9, 0
	v_mov_b32_e32 v10, 0x70
	s_cmp_eq_u32 s17, 8
	global_load_dwordx2 v[7:8], v9, s[10:11] offset:72
	s_waitcnt vmcnt(0)
	v_cmp_eq_f64_e32 vcc_lo, v[5:6], v[7:8]
	v_cndmask_b32_e32 v10, 0x74, v10, vcc_lo
	v_cmp_ngt_f64_e32 vcc_lo, v[5:6], v[7:8]
	v_mov_b32_e32 v7, 1
	v_mov_b32_e32 v8, 0xac
	v_cndmask_b32_e32 v5, 0x6c, v10, vcc_lo
	v_add_co_u32 v5, s4, s8, v5
	v_add_co_ci_u32_e64 v6, null, s9, 0, s4
	global_atomic_add v[5:6], v7, off
	global_load_dwordx2 v[5:6], v9, s[10:11] offset:112
	s_waitcnt vmcnt(0)
	v_cmp_eq_f64_e32 vcc_lo, v[3:4], v[5:6]
	v_cndmask_b32_e32 v8, 0xb0, v8, vcc_lo
	v_cmp_ngt_f64_e32 vcc_lo, v[3:4], v[5:6]
	v_mov_b32_e32 v5, 0
	v_mov_b32_e32 v6, 0
	v_cndmask_b32_e32 v3, 0xa8, v8, vcc_lo
	v_add_co_u32 v3, s4, s8, v3
	v_add_co_ci_u32_e64 v4, null, s9, 0, s4
	global_atomic_add v[3:4], v7, off
	v_mov_b32_e32 v3, 0
	v_mov_b32_e32 v4, 0
	s_cbranch_scc1 .LBB1_46
; %bb.44:
	s_mov_b32 s7, 0
	v_mov_b32_e32 v3, 0
	v_mov_b32_e32 v5, 0
	;; [unrolled: 1-line block ×6, first 2 shown]
	s_mov_b32 s19, s7
	s_add_i32 s6, s17, -8
	s_lshl_b64 s[12:13], s[18:19], 3
	.p2align	6
.LBB1_45:                               ; =>This Inner Loop Header: Depth=1
	v_add_co_u32 v9, vcc_lo, v7, s12
	v_add_co_ci_u32_e64 v10, null, s13, v8, vcc_lo
	v_add_f64 v[11:12], v[5:6], 1.0
	s_add_u32 s6, s6, -1
	s_clause 0x1
	global_load_ubyte v13, v[7:8], off
	global_load_ubyte v14, v[9:10], off
	v_add_co_u32 v7, s4, v7, s18
	v_add_co_ci_u32_e64 v8, null, 0, v8, s4
	s_addc_u32 s7, s7, -1
	s_cmp_lg_u64 s[6:7], 0
	s_waitcnt vmcnt(0)
	v_mul_u32_u24_sdwa v9, v14, v13 dst_sel:DWORD dst_unused:UNUSED_PAD src0_sel:BYTE_0 src1_sel:WORD_0
	v_cmp_eq_u16_e32 vcc_lo, v13, v14
	v_cvt_f64_u32_e32 v[9:10], v9
	v_cndmask_b32_e32 v6, v6, v12, vcc_lo
	v_cndmask_b32_e32 v5, v5, v11, vcc_lo
	v_add_f64 v[3:4], v[3:4], v[9:10]
	s_cbranch_scc1 .LBB1_45
.LBB1_46:
	v_mov_b32_e32 v9, 0
	v_mov_b32_e32 v10, 0x7c
	s_cmp_eq_u32 s17, 16
	global_load_dwordx2 v[7:8], v9, s[10:11] offset:80
	s_waitcnt vmcnt(0)
	v_cmp_eq_f64_e32 vcc_lo, v[5:6], v[7:8]
	v_cndmask_b32_e32 v10, 0x80, v10, vcc_lo
	v_cmp_ngt_f64_e32 vcc_lo, v[5:6], v[7:8]
	v_mov_b32_e32 v7, 1
	v_mov_b32_e32 v8, 0xb8
	v_cndmask_b32_e32 v5, 0x78, v10, vcc_lo
	v_add_co_u32 v5, s4, s8, v5
	v_add_co_ci_u32_e64 v6, null, s9, 0, s4
	global_atomic_add v[5:6], v7, off
	global_load_dwordx2 v[5:6], v9, s[10:11] offset:120
	s_waitcnt vmcnt(0)
	v_cmp_eq_f64_e32 vcc_lo, v[3:4], v[5:6]
	v_cndmask_b32_e32 v8, 0xbc, v8, vcc_lo
	v_cmp_ngt_f64_e32 vcc_lo, v[3:4], v[5:6]
	v_mov_b32_e32 v5, 0
	v_mov_b32_e32 v6, 0
	v_cndmask_b32_e32 v3, 0xb4, v8, vcc_lo
	v_add_co_u32 v3, s4, s8, v3
	v_add_co_ci_u32_e64 v4, null, s9, 0, s4
	global_atomic_add v[3:4], v7, off
	v_mov_b32_e32 v3, 0
	v_mov_b32_e32 v4, 0
	s_cbranch_scc1 .LBB1_49
; %bb.47:
	s_mov_b32 s7, 0
	v_mov_b32_e32 v3, 0
	v_mov_b32_e32 v5, 0
	;; [unrolled: 1-line block ×6, first 2 shown]
	s_mov_b32 s19, s7
	s_add_i32 s6, s17, -16
	s_lshl_b64 s[12:13], s[18:19], 4
	.p2align	6
.LBB1_48:                               ; =>This Inner Loop Header: Depth=1
	v_add_co_u32 v9, vcc_lo, v7, s12
	v_add_co_ci_u32_e64 v10, null, s13, v8, vcc_lo
	v_add_f64 v[11:12], v[5:6], 1.0
	s_add_u32 s6, s6, -1
	s_clause 0x1
	global_load_ubyte v13, v[7:8], off
	global_load_ubyte v14, v[9:10], off
	v_add_co_u32 v7, s4, v7, s18
	v_add_co_ci_u32_e64 v8, null, 0, v8, s4
	s_addc_u32 s7, s7, -1
	s_cmp_lg_u64 s[6:7], 0
	s_waitcnt vmcnt(0)
	v_mul_u32_u24_sdwa v9, v14, v13 dst_sel:DWORD dst_unused:UNUSED_PAD src0_sel:BYTE_0 src1_sel:WORD_0
	v_cmp_eq_u16_e32 vcc_lo, v13, v14
	v_cvt_f64_u32_e32 v[9:10], v9
	v_cndmask_b32_e32 v6, v6, v12, vcc_lo
	v_cndmask_b32_e32 v5, v5, v11, vcc_lo
	v_add_f64 v[3:4], v[3:4], v[9:10]
	s_cbranch_scc1 .LBB1_48
.LBB1_49:
	v_mov_b32_e32 v9, 0
	v_mov_b32_e32 v10, 0x88
	s_cmp_eq_u32 s17, 32
	global_load_dwordx2 v[7:8], v9, s[10:11] offset:88
	s_waitcnt vmcnt(0)
	v_cmp_eq_f64_e32 vcc_lo, v[5:6], v[7:8]
	v_cndmask_b32_e32 v10, 0x8c, v10, vcc_lo
	v_cmp_ngt_f64_e32 vcc_lo, v[5:6], v[7:8]
	v_mov_b32_e32 v7, 1
	v_mov_b32_e32 v8, 0xc4
	v_cndmask_b32_e32 v5, 0x84, v10, vcc_lo
	v_add_co_u32 v5, s4, s8, v5
	v_add_co_ci_u32_e64 v6, null, s9, 0, s4
	global_atomic_add v[5:6], v7, off
	global_load_dwordx2 v[5:6], v9, s[10:11] offset:128
	s_waitcnt vmcnt(0)
	v_cmp_eq_f64_e32 vcc_lo, v[3:4], v[5:6]
	v_cndmask_b32_e32 v8, 0xc8, v8, vcc_lo
	v_cmp_ngt_f64_e32 vcc_lo, v[3:4], v[5:6]
	v_mov_b32_e32 v5, 0
	v_mov_b32_e32 v6, 0
	v_cndmask_b32_e32 v3, 0xc0, v8, vcc_lo
	v_add_co_u32 v3, s4, s8, v3
	v_add_co_ci_u32_e64 v4, null, s9, 0, s4
	global_atomic_add v[3:4], v7, off
	v_mov_b32_e32 v3, 0
	v_mov_b32_e32 v4, 0
	s_cbranch_scc1 .LBB1_52
; %bb.50:
	s_mov_b32 s7, 0
	v_mov_b32_e32 v3, 0
	v_mov_b32_e32 v5, 0
	;; [unrolled: 1-line block ×4, first 2 shown]
	s_mov_b32 s19, s7
	s_sub_i32 s6, s17, 32
	s_lshl_b64 s[12:13], s[18:19], 5
	.p2align	6
.LBB1_51:                               ; =>This Inner Loop Header: Depth=1
	v_add_co_u32 v7, vcc_lo, v1, s12
	v_add_co_ci_u32_e64 v8, null, s13, v2, vcc_lo
	v_add_f64 v[9:10], v[5:6], 1.0
	s_add_u32 s6, s6, -1
	s_clause 0x1
	global_load_ubyte v11, v[1:2], off
	global_load_ubyte v12, v[7:8], off
	v_add_co_u32 v1, s4, v1, s18
	v_add_co_ci_u32_e64 v2, null, 0, v2, s4
	s_addc_u32 s7, s7, -1
	s_cmp_lg_u64 s[6:7], 0
	s_waitcnt vmcnt(0)
	v_mul_u32_u24_sdwa v7, v12, v11 dst_sel:DWORD dst_unused:UNUSED_PAD src0_sel:BYTE_0 src1_sel:WORD_0
	v_cmp_eq_u16_e32 vcc_lo, v11, v12
	v_cvt_f64_u32_e32 v[7:8], v7
	v_cndmask_b32_e32 v6, v6, v10, vcc_lo
	v_cndmask_b32_e32 v5, v5, v9, vcc_lo
	v_add_f64 v[3:4], v[3:4], v[7:8]
	s_cbranch_scc1 .LBB1_51
.LBB1_52:
	v_mov_b32_e32 v7, 0
	v_mov_b32_e32 v8, 0x94
	global_load_dwordx2 v[1:2], v7, s[10:11] offset:96
	s_waitcnt vmcnt(0)
	v_cmp_eq_f64_e32 vcc_lo, v[5:6], v[1:2]
	v_cndmask_b32_e32 v8, 0x98, v8, vcc_lo
	v_cmp_ngt_f64_e32 vcc_lo, v[5:6], v[1:2]
	v_mov_b32_e32 v5, 1
	v_cndmask_b32_e32 v1, 0x90, v8, vcc_lo
	v_add_co_u32 v1, s4, s8, v1
	v_add_co_ci_u32_e64 v2, null, s9, 0, s4
	s_mov_b32 s4, exec_lo
	global_atomic_add v[1:2], v5, off
	global_load_dwordx2 v[5:6], v7, s[10:11] offset:136
	v_mov_b32_e32 v1, 0xcc
	v_mov_b32_e32 v2, 0
	s_waitcnt vmcnt(0)
	v_cmpx_ngt_f64_e32 v[3:4], v[5:6]
	s_cbranch_execz .LBB1_54
; %bb.53:
	v_cmp_eq_f64_e32 vcc_lo, v[3:4], v[5:6]
	v_mov_b32_e32 v1, 0xd0
	v_cndmask_b32_e32 v6, 0xd4, v1, vcc_lo
	v_mov_b32_e32 v1, v6
	v_mov_b32_e32 v2, v7
.LBB1_54:
	s_or_b32 exec_lo, exec_lo, s4
	s_mov_b32 s4, -1
	s_and_b32 vcc_lo, exec_lo, s24
	s_cbranch_vccz .LBB1_8
.LBB1_55:
	v_mov_b32_e32 v1, 0
	s_cmp_eq_u32 s17, 0
	s_mov_b32 s7, 0
	buffer_store_dword v1, off, s[0:3], 0 offset:252
	buffer_store_dword v1, off, s[0:3], 0 offset:248
	;; [unrolled: 1-line block ×63, first 2 shown]
	buffer_store_dword v1, off, s[0:3], 0
	s_cbranch_scc1 .LBB1_74
; %bb.56:
	v_add_co_u32 v4, s4, s20, v0
	v_mov_b32_e32 v8, 0
	v_mov_b32_e32 v2, 0
	;; [unrolled: 1-line block ×3, first 2 shown]
	s_waitcnt lgkmcnt(0)
	s_lshl_b32 s12, 1, s16
	v_add_co_ci_u32_e64 v5, null, s21, 0, s4
	v_mov_b32_e32 v9, 0
	v_mov_b32_e32 v3, 0
	;; [unrolled: 1-line block ×6, first 2 shown]
	s_cmp_gt_u32 s16, 1
	s_mov_b32 s6, s17
	s_mov_b32 s13, s7
	s_cselect_b32 s16, -1, 0
	s_and_b32 s14, s12, -4
	s_mov_b32 s15, s7
	s_mov_b32 s17, s7
	s_branch .LBB1_59
.LBB1_57:                               ;   in Loop: Header=BB1_59 Depth=1
	s_or_b32 exec_lo, exec_lo, s4
.LBB1_58:                               ;   in Loop: Header=BB1_59 Depth=1
	s_or_b32 exec_lo, exec_lo, s5
	v_add_co_u32 v6, vcc_lo, v6, 1
	v_add_co_ci_u32_e64 v7, null, 0, v7, vcc_lo
	v_add_co_u32 v10, vcc_lo, v8, v6
	v_add_co_ci_u32_e64 v11, null, v9, v7, vcc_lo
	v_cmp_le_u64_e32 vcc_lo, s[6:7], v[10:11]
	s_or_b32 s17, vcc_lo, s17
	s_andn2_b32 exec_lo, exec_lo, s17
	s_cbranch_execz .LBB1_73
.LBB1_59:                               ; =>This Loop Header: Depth=1
                                        ;     Child Loop BB1_61 Depth 2
                                        ;     Child Loop BB1_65 Depth 2
	;; [unrolled: 1-line block ×3, first 2 shown]
	s_andn2_b32 vcc_lo, exec_lo, s16
	s_mov_b32 s4, -1
	s_cbranch_vccnz .LBB1_63
; %bb.60:                               ;   in Loop: Header=BB1_59 Depth=1
	s_mov_b32 s19, 0
	s_mov_b64 s[4:5], s[14:15]
.LBB1_61:                               ;   Parent Loop BB1_59 Depth=1
                                        ; =>  This Inner Loop Header: Depth=2
	v_mov_b32_e32 v10, s19
	s_add_u32 s4, s4, -4
	s_addc_u32 s5, s5, -1
	s_add_i32 s19, s19, 4
	s_cmp_lg_u64 s[4:5], 0
	buffer_store_dword v1, v10, s[0:3], 0 offen
	s_cbranch_scc1 .LBB1_61
; %bb.62:                               ;   in Loop: Header=BB1_59 Depth=1
	s_mov_b32 s4, 0
.LBB1_63:                               ;   in Loop: Header=BB1_59 Depth=1
	s_and_b32 vcc_lo, exec_lo, s4
	s_cbranch_vccz .LBB1_66
; %bb.64:                               ;   in Loop: Header=BB1_59 Depth=1
	s_mov_b32 s19, 0
	s_mov_b64 s[4:5], s[12:13]
.LBB1_65:                               ;   Parent Loop BB1_59 Depth=1
                                        ; =>  This Inner Loop Header: Depth=2
	v_mov_b32_e32 v10, s19
	s_add_u32 s4, s4, -1
	s_addc_u32 s5, s5, -1
	s_add_i32 s19, s19, 1
	s_cmp_eq_u64 s[4:5], 0
	buffer_store_byte v1, v10, s[0:3], 0 offen
	s_cbranch_scc0 .LBB1_65
.LBB1_66:                               ;   in Loop: Header=BB1_59 Depth=1
	v_add_co_u32 v10, vcc_lo, v6, v8
	v_add_co_ci_u32_e64 v11, null, v7, v9, vcc_lo
	s_mov_b32 s5, exec_lo
	v_cmpx_gt_u64_e64 s[6:7], v[10:11]
	s_cbranch_execz .LBB1_58
; %bb.67:                               ;   in Loop: Header=BB1_59 Depth=1
	v_mad_u64_u32 v[12:13], null, s18, v10, v[4:5]
	s_mov_b32 s20, 0
                                        ; implicit-def: $sgpr19
                                        ; implicit-def: $sgpr22
                                        ; implicit-def: $sgpr21
	v_mov_b32_e32 v10, v13
	v_mad_u64_u32 v[10:11], null, s18, v11, v[10:11]
	v_mov_b32_e32 v13, v10
	s_inst_prefetch 0x1
	s_branch .LBB1_69
	.p2align	6
.LBB1_68:                               ;   in Loop: Header=BB1_69 Depth=2
	s_or_b32 exec_lo, exec_lo, s23
	s_and_b32 s4, exec_lo, s22
	s_or_b32 s20, s4, s20
	s_andn2_b32 s4, s19, exec_lo
	s_and_b32 s19, s21, exec_lo
	s_or_b32 s19, s4, s19
	s_andn2_b32 exec_lo, exec_lo, s20
	s_cbranch_execz .LBB1_71
.LBB1_69:                               ;   Parent Loop BB1_59 Depth=1
                                        ; =>  This Inner Loop Header: Depth=2
	global_load_ubyte v10, v[12:13], off
	s_or_b32 s21, s21, exec_lo
	s_or_b32 s22, s22, exec_lo
	s_waitcnt vmcnt(0)
	v_mov_b32_e32 v16, v10
	buffer_load_ubyte v10, v16, s[0:3], 0 offen
	s_waitcnt vmcnt(0)
	v_and_b32_e32 v10, 1, v10
	v_cmp_eq_u32_e32 vcc_lo, 1, v10
	v_mov_b32_e32 v11, v9
	v_mov_b32_e32 v10, v8
                                        ; implicit-def: $vgpr8_vgpr9
	s_xor_b32 s4, vcc_lo, -1
	s_and_saveexec_b32 s23, s4
	s_cbranch_execz .LBB1_68
; %bb.70:                               ;   in Loop: Header=BB1_69 Depth=2
	v_add_co_u32 v8, vcc_lo, v10, 1
	v_add_co_ci_u32_e64 v9, null, 0, v11, vcc_lo
	v_add_co_u32 v12, s4, v12, s18
	v_add_co_u32 v17, vcc_lo, v6, v8
	v_add_co_ci_u32_e64 v18, null, v7, v9, vcc_lo
	v_add_co_ci_u32_e64 v13, null, 0, v13, s4
	s_andn2_b32 s4, s22, exec_lo
	v_cmp_le_u64_e32 vcc_lo, s[6:7], v[17:18]
	s_andn2_b32 s21, s21, exec_lo
	buffer_store_byte v14, v16, s[0:3], 0 offen
	s_and_b32 s22, vcc_lo, exec_lo
	s_or_b32 s22, s4, s22
	s_branch .LBB1_68
.LBB1_71:                               ;   in Loop: Header=BB1_59 Depth=1
	s_inst_prefetch 0x2
	s_or_b32 exec_lo, exec_lo, s20
	s_and_saveexec_b32 s4, s19
	s_xor_b32 s4, exec_lo, s4
	s_cbranch_execz .LBB1_57
; %bb.72:                               ;   in Loop: Header=BB1_59 Depth=1
	v_cvt_f64_u32_e32 v[8:9], v11
	v_cvt_f64_u32_e32 v[12:13], v10
	v_add_co_u32 v6, vcc_lo, v6, v10
	v_add_co_ci_u32_e64 v7, null, v7, v11, vcc_lo
	v_cmp_gt_u64_e32 vcc_lo, v[10:11], v[0:1]
	v_add_nc_u32_e32 v15, 1, v15
	v_cndmask_b32_e32 v0, v0, v10, vcc_lo
	v_ldexp_f64 v[8:9], v[8:9], 32
	v_add_f64 v[8:9], v[8:9], v[12:13]
	v_add_f64 v[2:3], v[2:3], v[8:9]
	v_mov_b32_e32 v8, 0
	v_mov_b32_e32 v9, 0
	s_branch .LBB1_57
.LBB1_73:
	s_or_b32 exec_lo, exec_lo, s17
	v_cvt_f64_u32_e32 v[4:5], v15
	v_div_scale_f64 v[6:7], null, v[4:5], v[4:5], v[2:3]
	v_div_scale_f64 v[12:13], vcc_lo, v[2:3], v[4:5], v[2:3]
	v_rcp_f64_e32 v[8:9], v[6:7]
	v_fma_f64 v[10:11], -v[6:7], v[8:9], 1.0
	v_fma_f64 v[8:9], v[8:9], v[10:11], v[8:9]
	v_fma_f64 v[10:11], -v[6:7], v[8:9], 1.0
	v_fma_f64 v[8:9], v[8:9], v[10:11], v[8:9]
	v_mul_f64 v[10:11], v[12:13], v[8:9]
	v_fma_f64 v[6:7], -v[6:7], v[10:11], v[12:13]
	v_div_fmas_f64 v[6:7], v[6:7], v[8:9], v[10:11]
	v_div_fixup_f64 v[1:2], v[6:7], v[4:5], v[2:3]
	v_cvt_f64_u32_e32 v[3:4], v0
	s_branch .LBB1_75
.LBB1_74:
	v_mov_b32_e32 v3, 0
	v_mov_b32_e32 v1, 0
	;; [unrolled: 1-line block ×4, first 2 shown]
.LBB1_75:
	v_mov_b32_e32 v5, 0
	v_mov_b32_e32 v0, 0x4c
	s_waitcnt lgkmcnt(0)
	global_load_dwordx2 v[6:7], v5, s[10:11] offset:48
	s_waitcnt vmcnt(0)
	v_cmp_eq_f64_e32 vcc_lo, v[1:2], v[6:7]
	v_cndmask_b32_e32 v0, 0x50, v0, vcc_lo
	v_cmp_ngt_f64_e32 vcc_lo, v[1:2], v[6:7]
	v_mov_b32_e32 v2, 1
	v_cndmask_b32_e32 v0, 0x48, v0, vcc_lo
	v_add_co_u32 v0, s4, s8, v0
	v_add_co_ci_u32_e64 v1, null, s9, 0, s4
	s_mov_b32 s4, exec_lo
	global_atomic_add v[0:1], v2, off
	global_load_dwordx2 v[6:7], v5, s[10:11] offset:56
	v_mov_b32_e32 v1, 0x54
	v_mov_b32_e32 v2, 0
	s_waitcnt vmcnt(0)
	v_cmpx_ngt_f64_e32 v[3:4], v[6:7]
	s_cbranch_execz .LBB1_77
; %bb.76:
	v_cmp_eq_f64_e32 vcc_lo, v[3:4], v[6:7]
	v_mov_b32_e32 v0, 0x58
	v_cndmask_b32_e32 v4, 0x5c, v0, vcc_lo
	v_mov_b32_e32 v1, v4
	v_mov_b32_e32 v2, v5
.LBB1_77:
	s_or_b32 exec_lo, exec_lo, s4
	s_cbranch_execz .LBB1_9
.LBB1_78:
	s_waitcnt lgkmcnt(0)
	v_add_co_u32 v0, vcc_lo, s8, v1
	v_add_co_ci_u32_e64 v1, null, s9, v2, vcc_lo
	v_mov_b32_e32 v2, 1
	global_atomic_add v[0:1], v2, off
	s_endpgm
	.section	.rodata,"a",@progbits
	.p2align	6, 0x0
	.amdhsa_kernel _Z24statistical_tests_kernelPjPKdddPKhjjjj
		.amdhsa_group_segment_fixed_size 0
		.amdhsa_private_segment_fixed_size 272
		.amdhsa_kernarg_size 312
		.amdhsa_user_sgpr_count 6
		.amdhsa_user_sgpr_private_segment_buffer 1
		.amdhsa_user_sgpr_dispatch_ptr 0
		.amdhsa_user_sgpr_queue_ptr 0
		.amdhsa_user_sgpr_kernarg_segment_ptr 1
		.amdhsa_user_sgpr_dispatch_id 0
		.amdhsa_user_sgpr_flat_scratch_init 0
		.amdhsa_user_sgpr_private_segment_size 0
		.amdhsa_wavefront_size32 1
		.amdhsa_uses_dynamic_stack 0
		.amdhsa_system_sgpr_private_segment_wavefront_offset 1
		.amdhsa_system_sgpr_workgroup_id_x 1
		.amdhsa_system_sgpr_workgroup_id_y 0
		.amdhsa_system_sgpr_workgroup_id_z 0
		.amdhsa_system_sgpr_workgroup_info 0
		.amdhsa_system_vgpr_workitem_id 0
		.amdhsa_next_free_vgpr 19
		.amdhsa_next_free_sgpr 27
		.amdhsa_reserve_vcc 1
		.amdhsa_reserve_flat_scratch 0
		.amdhsa_float_round_mode_32 0
		.amdhsa_float_round_mode_16_64 0
		.amdhsa_float_denorm_mode_32 3
		.amdhsa_float_denorm_mode_16_64 3
		.amdhsa_dx10_clamp 1
		.amdhsa_ieee_mode 1
		.amdhsa_fp16_overflow 0
		.amdhsa_workgroup_processor_mode 1
		.amdhsa_memory_ordered 1
		.amdhsa_forward_progress 1
		.amdhsa_shared_vgpr_count 0
		.amdhsa_exception_fp_ieee_invalid_op 0
		.amdhsa_exception_fp_denorm_src 0
		.amdhsa_exception_fp_ieee_div_zero 0
		.amdhsa_exception_fp_ieee_overflow 0
		.amdhsa_exception_fp_ieee_underflow 0
		.amdhsa_exception_fp_ieee_inexact 0
		.amdhsa_exception_int_div_zero 0
	.end_amdhsa_kernel
	.text
.Lfunc_end1:
	.size	_Z24statistical_tests_kernelPjPKdddPKhjjjj, .Lfunc_end1-_Z24statistical_tests_kernelPjPKdddPKhjjjj
                                        ; -- End function
	.set _Z24statistical_tests_kernelPjPKdddPKhjjjj.num_vgpr, 19
	.set _Z24statistical_tests_kernelPjPKdddPKhjjjj.num_agpr, 0
	.set _Z24statistical_tests_kernelPjPKdddPKhjjjj.numbered_sgpr, 27
	.set _Z24statistical_tests_kernelPjPKdddPKhjjjj.num_named_barrier, 0
	.set _Z24statistical_tests_kernelPjPKdddPKhjjjj.private_seg_size, 272
	.set _Z24statistical_tests_kernelPjPKdddPKhjjjj.uses_vcc, 1
	.set _Z24statistical_tests_kernelPjPKdddPKhjjjj.uses_flat_scratch, 0
	.set _Z24statistical_tests_kernelPjPKdddPKhjjjj.has_dyn_sized_stack, 0
	.set _Z24statistical_tests_kernelPjPKdddPKhjjjj.has_recursion, 0
	.set _Z24statistical_tests_kernelPjPKdddPKhjjjj.has_indirect_call, 0
	.section	.AMDGPU.csdata,"",@progbits
; Kernel info:
; codeLenInByte = 4480
; TotalNumSgprs: 29
; NumVgprs: 19
; ScratchSize: 272
; MemoryBound: 0
; FloatMode: 240
; IeeeMode: 1
; LDSByteSize: 0 bytes/workgroup (compile time only)
; SGPRBlocks: 0
; VGPRBlocks: 2
; NumSGPRsForWavesPerEU: 29
; NumVGPRsForWavesPerEU: 19
; Occupancy: 16
; WaveLimiterHint : 0
; COMPUTE_PGM_RSRC2:SCRATCH_EN: 1
; COMPUTE_PGM_RSRC2:USER_SGPR: 6
; COMPUTE_PGM_RSRC2:TRAP_HANDLER: 0
; COMPUTE_PGM_RSRC2:TGID_X_EN: 1
; COMPUTE_PGM_RSRC2:TGID_Y_EN: 0
; COMPUTE_PGM_RSRC2:TGID_Z_EN: 0
; COMPUTE_PGM_RSRC2:TIDIG_COMP_CNT: 0
	.text
	.protected	_Z23binary_shuffling_kernelPhS_PKhjjj ; -- Begin function _Z23binary_shuffling_kernelPhS_PKhjjj
	.globl	_Z23binary_shuffling_kernelPhS_PKhjjj
	.p2align	8
	.type	_Z23binary_shuffling_kernelPhS_PKhjjj,@function
_Z23binary_shuffling_kernelPhS_PKhjjj:  ; @_Z23binary_shuffling_kernelPhS_PKhjjj
; %bb.0:
	s_clause 0x3
	s_load_dword s7, s[4:5], 0x34
	s_load_dwordx4 s[0:3], s[4:5], 0x18
	s_load_dwordx4 s[8:11], s[4:5], 0x0
	s_load_dwordx2 s[4:5], s[4:5], 0x10
	s_waitcnt lgkmcnt(0)
	s_and_b32 s3, s7, 0xffff
	s_cmp_eq_u32 s0, 0
	s_mul_i32 s6, s6, s3
	v_add_nc_u32_e32 v1, s6, v0
	s_cbranch_scc1 .LBB2_4
; %bb.1:
	v_mov_b32_e32 v3, 0
	v_mov_b32_e32 v4, v1
	;; [unrolled: 1-line block ×3, first 2 shown]
	s_mov_b32 s3, s0
.LBB2_2:                                ; =>This Inner Loop Header: Depth=1
	global_load_ubyte v5, v3, s[4:5]
	s_add_i32 s3, s3, -1
	s_add_u32 s4, s4, 1
	s_addc_u32 s5, s5, 0
	s_cmp_lg_u32 s3, 0
	s_waitcnt vmcnt(0)
	global_store_byte v4, v5, s[8:9]
	v_add_nc_u32_sdwa v2, v2, v5 dst_sel:DWORD dst_unused:UNUSED_PAD src0_sel:DWORD src1_sel:BYTE_0
	v_add_nc_u32_e32 v4, s2, v4
	s_cbranch_scc1 .LBB2_2
; %bb.3:
	s_add_i32 s3, s0, -1
	s_cmp_eq_u32 s3, 0
	s_cbranch_scc0 .LBB2_5
	s_branch .LBB2_7
.LBB2_4:
	v_mov_b32_e32 v2, 0
	s_add_i32 s3, s0, -1
	s_cmp_eq_u32 s3, 0
	s_cbranch_scc1 .LBB2_7
.LBB2_5:
	s_mul_i32 s4, s2, s3
	s_sub_i32 s0, 1, s0
	v_xor_b32_e32 v2, v2, v1
	v_add3_u32 v4, s6, s4, v0
	v_mov_b32_e32 v5, s0
	s_inst_prefetch 0x1
	.p2align	6
.LBB2_6:                                ; =>This Inner Loop Header: Depth=1
	v_cvt_f32_u32_e32 v3, s3
	v_rcp_iflag_f32_e32 v3, v3
	v_mul_f32_e32 v3, 0x4f7ffffe, v3
	v_cvt_u32_f32_e32 v6, v3
	v_mul_lo_u32 v3, v5, v6
	v_mul_hi_u32 v7, v6, v3
	v_mad_u64_u32 v[2:3], null, 0xe48e2825, v2, 1
	v_add_nc_u32_e32 v3, v6, v7
	v_mul_hi_u32 v3, v2, v3
	v_mul_lo_u32 v3, v3, s3
	v_sub_nc_u32_e32 v3, v2, v3
	v_subrev_nc_u32_e32 v6, s3, v3
	v_cmp_le_u32_e32 vcc_lo, s3, v3
	v_cndmask_b32_e32 v3, v3, v6, vcc_lo
	v_add_nc_u32_e32 v6, v3, v5
	v_cmp_le_u32_e32 vcc_lo, s3, v3
	v_add_co_u32 v5, s0, v5, 1
	s_add_i32 s3, s3, -1
	v_cndmask_b32_e32 v3, v3, v6, vcc_lo
	s_and_b32 vcc_lo, exec_lo, s0
	v_mad_u64_u32 v[6:7], null, v3, s2, v[1:2]
	s_clause 0x1
	global_load_ubyte v3, v4, s[8:9]
	global_load_ubyte v7, v6, s[8:9]
	s_waitcnt vmcnt(1)
	global_store_byte v6, v3, s[8:9]
	s_waitcnt vmcnt(0)
	global_store_byte v4, v7, s[8:9]
	v_subrev_nc_u32_e32 v4, s2, v4
	s_cbranch_vccz .LBB2_6
.LBB2_7:
	s_inst_prefetch 0x2
	s_cmp_eq_u32 s1, 0
	s_cbranch_scc1 .LBB2_10
; %bb.8:
	v_mad_u64_u32 v[1:2], null, s2, 3, v[0:1]
	v_add_nc_u32_e32 v6, s2, v0
	v_lshl_add_u32 v7, s2, 2, v0
	v_mov_b32_e32 v8, v0
	s_lshl_b32 s0, s2, 3
	v_mad_u64_u32 v[2:3], null, s2, 5, v[0:1]
	v_mad_u64_u32 v[3:4], null, s2, 6, v[0:1]
	;; [unrolled: 1-line block ×3, first 2 shown]
	v_lshl_add_u32 v5, s2, 1, v0
.LBB2_9:                                ; =>This Inner Loop Header: Depth=1
	v_add_nc_u32_e32 v9, s6, v6
	v_add_nc_u32_e32 v10, s6, v0
	;; [unrolled: 1-line block ×5, first 2 shown]
	s_clause 0x1
	global_load_ubyte v9, v9, s[8:9]
	global_load_ubyte v10, v10, s[8:9]
	v_add_nc_u32_e32 v14, s6, v2
	s_clause 0x2
	global_load_ubyte v11, v11, s[8:9]
	global_load_ubyte v12, v12, s[8:9]
	;; [unrolled: 1-line block ×3, first 2 shown]
	v_add_nc_u32_e32 v15, s6, v3
	s_clause 0x1
	global_load_ubyte v14, v14, s[8:9]
	global_load_ubyte v15, v15, s[8:9]
	v_add_nc_u32_e32 v16, s6, v4
	v_add_nc_u32_e32 v6, s0, v6
	;; [unrolled: 1-line block ×5, first 2 shown]
	global_load_ubyte v16, v16, s[8:9]
	v_add_nc_u32_e32 v2, s0, v2
	v_add_nc_u32_e32 v3, s0, v3
	;; [unrolled: 1-line block ×4, first 2 shown]
	s_add_i32 s1, s1, -1
	s_cmp_lg_u32 s1, 0
	s_waitcnt vmcnt(7)
	v_lshlrev_b16 v9, 6, v9
	s_waitcnt vmcnt(6)
	v_lshlrev_b16 v10, 7, v10
	;; [unrolled: 2-line block ×4, first 2 shown]
	v_and_b32_e32 v9, 64, v9
	v_and_b32_e32 v11, 32, v11
	;; [unrolled: 1-line block ×3, first 2 shown]
	v_or_b32_e32 v9, v9, v10
	s_waitcnt vmcnt(3)
	v_lshlrev_b16 v10, 3, v13
	v_or_b32_e32 v9, v9, v11
	s_waitcnt vmcnt(2)
	v_lshlrev_b16 v11, 2, v14
	v_and_b32_e32 v10, 8, v10
	v_or_b32_e32 v9, v9, v12
	s_waitcnt vmcnt(1)
	v_lshlrev_b16 v12, 1, v15
	v_and_b32_e32 v11, 4, v11
	v_or_b32_e32 v9, v9, v10
	v_and_b32_e32 v12, 2, v12
	v_add_nc_u32_e32 v10, s6, v8
	v_add_nc_u32_e32 v8, s2, v8
	v_or_b32_e32 v9, v9, v11
	s_waitcnt vmcnt(0)
	v_and_b32_e32 v11, 1, v16
	v_or_b32_e32 v9, v9, v12
	v_xor_b32_e32 v9, v9, v11
	global_store_byte v10, v9, s[10:11]
	s_cbranch_scc1 .LBB2_9
.LBB2_10:
	s_endpgm
	.section	.rodata,"a",@progbits
	.p2align	6, 0x0
	.amdhsa_kernel _Z23binary_shuffling_kernelPhS_PKhjjj
		.amdhsa_group_segment_fixed_size 0
		.amdhsa_private_segment_fixed_size 0
		.amdhsa_kernarg_size 296
		.amdhsa_user_sgpr_count 6
		.amdhsa_user_sgpr_private_segment_buffer 1
		.amdhsa_user_sgpr_dispatch_ptr 0
		.amdhsa_user_sgpr_queue_ptr 0
		.amdhsa_user_sgpr_kernarg_segment_ptr 1
		.amdhsa_user_sgpr_dispatch_id 0
		.amdhsa_user_sgpr_flat_scratch_init 0
		.amdhsa_user_sgpr_private_segment_size 0
		.amdhsa_wavefront_size32 1
		.amdhsa_uses_dynamic_stack 0
		.amdhsa_system_sgpr_private_segment_wavefront_offset 0
		.amdhsa_system_sgpr_workgroup_id_x 1
		.amdhsa_system_sgpr_workgroup_id_y 0
		.amdhsa_system_sgpr_workgroup_id_z 0
		.amdhsa_system_sgpr_workgroup_info 0
		.amdhsa_system_vgpr_workitem_id 0
		.amdhsa_next_free_vgpr 17
		.amdhsa_next_free_sgpr 12
		.amdhsa_reserve_vcc 1
		.amdhsa_reserve_flat_scratch 0
		.amdhsa_float_round_mode_32 0
		.amdhsa_float_round_mode_16_64 0
		.amdhsa_float_denorm_mode_32 3
		.amdhsa_float_denorm_mode_16_64 3
		.amdhsa_dx10_clamp 1
		.amdhsa_ieee_mode 1
		.amdhsa_fp16_overflow 0
		.amdhsa_workgroup_processor_mode 1
		.amdhsa_memory_ordered 1
		.amdhsa_forward_progress 1
		.amdhsa_shared_vgpr_count 0
		.amdhsa_exception_fp_ieee_invalid_op 0
		.amdhsa_exception_fp_denorm_src 0
		.amdhsa_exception_fp_ieee_div_zero 0
		.amdhsa_exception_fp_ieee_overflow 0
		.amdhsa_exception_fp_ieee_underflow 0
		.amdhsa_exception_fp_ieee_inexact 0
		.amdhsa_exception_int_div_zero 0
	.end_amdhsa_kernel
	.text
.Lfunc_end2:
	.size	_Z23binary_shuffling_kernelPhS_PKhjjj, .Lfunc_end2-_Z23binary_shuffling_kernelPhS_PKhjjj
                                        ; -- End function
	.set _Z23binary_shuffling_kernelPhS_PKhjjj.num_vgpr, 17
	.set _Z23binary_shuffling_kernelPhS_PKhjjj.num_agpr, 0
	.set _Z23binary_shuffling_kernelPhS_PKhjjj.numbered_sgpr, 12
	.set _Z23binary_shuffling_kernelPhS_PKhjjj.num_named_barrier, 0
	.set _Z23binary_shuffling_kernelPhS_PKhjjj.private_seg_size, 0
	.set _Z23binary_shuffling_kernelPhS_PKhjjj.uses_vcc, 1
	.set _Z23binary_shuffling_kernelPhS_PKhjjj.uses_flat_scratch, 0
	.set _Z23binary_shuffling_kernelPhS_PKhjjj.has_dyn_sized_stack, 0
	.set _Z23binary_shuffling_kernelPhS_PKhjjj.has_recursion, 0
	.set _Z23binary_shuffling_kernelPhS_PKhjjj.has_indirect_call, 0
	.section	.AMDGPU.csdata,"",@progbits
; Kernel info:
; codeLenInByte = 752
; TotalNumSgprs: 14
; NumVgprs: 17
; ScratchSize: 0
; MemoryBound: 0
; FloatMode: 240
; IeeeMode: 1
; LDSByteSize: 0 bytes/workgroup (compile time only)
; SGPRBlocks: 0
; VGPRBlocks: 2
; NumSGPRsForWavesPerEU: 14
; NumVGPRsForWavesPerEU: 17
; Occupancy: 16
; WaveLimiterHint : 0
; COMPUTE_PGM_RSRC2:SCRATCH_EN: 0
; COMPUTE_PGM_RSRC2:USER_SGPR: 6
; COMPUTE_PGM_RSRC2:TRAP_HANDLER: 0
; COMPUTE_PGM_RSRC2:TGID_X_EN: 1
; COMPUTE_PGM_RSRC2:TGID_Y_EN: 0
; COMPUTE_PGM_RSRC2:TGID_Z_EN: 0
; COMPUTE_PGM_RSRC2:TIDIG_COMP_CNT: 0
	.text
	.protected	_Z31binary_statistical_tests_kernelPjPKdddPKhS3_jjjjj ; -- Begin function _Z31binary_statistical_tests_kernelPjPKdddPKhS3_jjjjj
	.globl	_Z31binary_statistical_tests_kernelPjPKdddPKhS3_jjjjj
	.p2align	8
	.type	_Z31binary_statistical_tests_kernelPjPKdddPKhS3_jjjjj,@function
_Z31binary_statistical_tests_kernelPjPKdddPKhS3_jjjjj: ; @_Z31binary_statistical_tests_kernelPjPKdddPKhS3_jjjjj
; %bb.0:
	s_clause 0x1
	s_load_dwordx4 s[16:19], s[4:5], 0x34
	s_load_dwordx4 s[20:23], s[4:5], 0x20
	s_add_u32 s0, s0, s7
	s_addc_u32 s1, s1, 0
	s_load_dword s25, s[4:5], 0x54
	s_waitcnt lgkmcnt(0)
	v_cvt_f32_u32_e32 v1, s19
	s_sub_i32 s8, 0, s19
	v_rcp_iflag_f32_e32 v1, v1
	v_mul_f32_e32 v1, 0x4f7ffffe, v1
	v_cvt_u32_f32_e32 v1, v1
	v_readfirstlane_b32 s7, v1
	s_mul_i32 s8, s8, s7
	s_mul_hi_u32 s8, s7, s8
	s_add_i32 s7, s7, s8
	s_mul_hi_u32 s7, s6, s7
	s_mul_i32 s8, s7, s19
	s_add_i32 s26, s7, 1
	s_sub_i32 s24, s6, s8
	s_load_dwordx8 s[8:15], s[4:5], 0x0
	s_sub_i32 s27, s24, s19
	s_cmp_ge_u32 s24, s19
	s_cselect_b32 s4, s26, s7
	s_cselect_b32 s5, s27, s24
	s_add_i32 s7, s4, 1
	s_cmp_ge_u32 s5, s19
	s_cselect_b32 s24, s7, s4
	s_mul_i32 s4, s24, s19
	s_sub_i32 s5, s6, s4
	s_and_b32 s4, s25, 0xffff
	s_cmp_le_u32 s19, s6
	s_mul_i32 s5, s5, s4
	s_mov_b32 s6, 0
	v_add_nc_u32_e32 v15, s5, v0
	s_cbranch_scc0 .LBB3_36
; %bb.1:
	s_cmp_lt_i32 s24, 2
	s_cbranch_scc1 .LBB3_37
; %bb.2:
	s_cmp_gt_i32 s24, 2
	s_cbranch_scc0 .LBB3_38
; %bb.3:
	s_mov_b32 s4, 0
	s_cmp_eq_u32 s24, 3
                                        ; implicit-def: $vgpr1_vgpr2
	s_cbranch_scc0 .LBB3_24
; %bb.4:
	v_mov_b32_e32 v1, 0
	v_mov_b32_e32 v3, 0
	v_mov_b32_e32 v2, 0
	v_mov_b32_e32 v4, 0
	s_cmp_eq_u32 s17, 1
	s_cbranch_scc1 .LBB3_7
; %bb.5:
	global_load_ubyte v5, v15, s[22:23]
	v_mov_b32_e32 v1, 0
	v_mov_b32_e32 v3, 0
	;; [unrolled: 1-line block ×6, first 2 shown]
	s_add_i32 s6, s17, -1
.LBB3_6:                                ; =>This Inner Loop Header: Depth=1
	v_add_nc_u32_e32 v7, s18, v7
	s_waitcnt vmcnt(0)
	v_lshrrev_b16 v8, 7, v5
	v_lshrrev_b16 v9, 6, v5
	;; [unrolled: 1-line block ×7, first 2 shown]
	v_and_b32_e32 v16, 1, v5
	global_load_ubyte v5, v7, s[22:23]
	v_and_b32_e32 v8, 1, v8
	v_and_b32_e32 v9, 1, v9
	v_and_b32_e32 v10, 1, v10
	v_and_b32_e32 v11, 1, v11
	v_and_b32_e32 v12, 1, v12
	v_add_nc_u16 v8, v16, v8
	v_and_b32_e32 v13, 1, v13
	s_add_i32 s6, s6, -1
	s_cmp_lg_u32 s6, 0
	v_add_nc_u16 v8, v8, v9
	v_add_nc_u16 v8, v8, v10
	;; [unrolled: 1-line block ×5, first 2 shown]
	s_waitcnt vmcnt(0)
	v_lshrrev_b16 v17, 7, v5
	v_lshrrev_b16 v18, 6, v5
	v_and_b32_e32 v19, 1, v5
	v_lshrrev_b16 v16, 5, v5
	v_lshrrev_b16 v9, 4, v5
	;; [unrolled: 1-line block ×3, first 2 shown]
	v_and_b32_e32 v18, 1, v18
	v_add_nc_u16 v17, v19, v17
	v_and_b32_e32 v16, 1, v16
	v_and_b32_e32 v9, 1, v9
	v_lshrrev_b16 v11, 2, v5
	v_and_b32_e32 v10, 1, v10
	v_add_nc_u16 v17, v17, v18
	v_lshrrev_b16 v12, 1, v5
	v_and_b32_e32 v11, 1, v11
	v_add_nc_u16 v16, v17, v16
	v_and_b32_e32 v12, 1, v12
	v_add_nc_u16 v9, v16, v9
	v_add_nc_u16 v9, v9, v10
	v_and_b32_e32 v10, 1, v14
	v_add_nc_u16 v9, v9, v11
	v_add_nc_u16 v13, v8, v10
	v_add_f64 v[10:11], v[3:4], 1.0
	v_add_nc_u16 v12, v9, v12
	v_mul_lo_u16 v8, v12, v13
	v_cmp_eq_u16_sdwa vcc_lo, v13, v12 src0_sel:BYTE_0 src1_sel:BYTE_0
	v_and_b32_sdwa v8, v6, v8 dst_sel:DWORD dst_unused:UNUSED_PAD src0_sel:DWORD src1_sel:BYTE_0
	v_cvt_f64_u32_e32 v[8:9], v8
	v_cndmask_b32_e32 v4, v4, v11, vcc_lo
	v_cndmask_b32_e32 v3, v3, v10, vcc_lo
	v_add_f64 v[1:2], v[1:2], v[8:9]
	s_cbranch_scc1 .LBB3_6
.LBB3_7:
	s_waitcnt lgkmcnt(0)
	s_load_dwordx2 s[6:7], s[10:11], 0x40
	v_mov_b32_e32 v5, 0x64
	v_mov_b32_e32 v6, 0
	s_cmp_eq_u32 s17, 2
	s_waitcnt lgkmcnt(0)
	v_cmp_eq_f64_e32 vcc_lo, s[6:7], v[3:4]
	v_cndmask_b32_e32 v5, 0x68, v5, vcc_lo
	v_cmp_nlt_f64_e32 vcc_lo, s[6:7], v[3:4]
	v_cndmask_b32_e32 v3, 0x60, v5, vcc_lo
	v_mov_b32_e32 v5, 1
	v_add_co_u32 v3, s6, s8, v3
	v_add_co_ci_u32_e64 v4, null, s9, 0, s6
	global_atomic_add v[3:4], v5, off
	global_load_dwordx2 v[3:4], v6, s[10:11] offset:104
	v_mov_b32_e32 v6, 0xa0
	s_waitcnt vmcnt(0)
	v_cmp_eq_f64_e32 vcc_lo, v[1:2], v[3:4]
	v_cndmask_b32_e32 v6, 0xa4, v6, vcc_lo
	v_cmp_ngt_f64_e32 vcc_lo, v[1:2], v[3:4]
	v_mov_b32_e32 v3, 0
	v_mov_b32_e32 v4, 0
	v_cndmask_b32_e32 v1, 0x9c, v6, vcc_lo
	v_add_co_u32 v1, s6, s8, v1
	v_add_co_ci_u32_e64 v2, null, s9, 0, s6
	global_atomic_add v[1:2], v5, off
	v_mov_b32_e32 v1, 0
	v_mov_b32_e32 v2, 0
	s_cbranch_scc1 .LBB3_10
; %bb.8:
	v_mov_b32_e32 v1, 0
	v_mov_b32_e32 v3, 0
	;; [unrolled: 1-line block ×6, first 2 shown]
	s_lshl_b32 s6, s18, 1
	s_add_i32 s7, s17, -2
.LBB3_9:                                ; =>This Inner Loop Header: Depth=1
	v_add_nc_u32_e32 v7, s6, v6
	s_add_i32 s7, s7, -1
	s_clause 0x1
	global_load_ubyte v8, v6, s[22:23]
	global_load_ubyte v7, v7, s[22:23]
	v_add_nc_u32_e32 v6, s18, v6
	s_cmp_lg_u32 s7, 0
	s_waitcnt vmcnt(1)
	v_lshrrev_b16 v9, 7, v8
	v_lshrrev_b16 v10, 6, v8
	;; [unrolled: 1-line block ×7, first 2 shown]
	v_and_b32_e32 v8, 1, v8
	s_waitcnt vmcnt(0)
	v_lshrrev_b16 v17, 7, v7
	v_lshrrev_b16 v18, 6, v7
	v_and_b32_e32 v19, 1, v7
	v_and_b32_e32 v10, 1, v10
	v_add_nc_u16 v8, v8, v9
	v_lshrrev_b16 v9, 5, v7
	v_and_b32_e32 v18, 1, v18
	v_add_nc_u16 v17, v19, v17
	v_and_b32_e32 v11, 1, v11
	v_lshrrev_b16 v19, 4, v7
	v_add_nc_u16 v8, v8, v10
	v_and_b32_e32 v9, 1, v9
	v_add_nc_u16 v10, v17, v18
	v_and_b32_e32 v12, 1, v12
	v_lshrrev_b16 v17, 3, v7
	v_and_b32_e32 v18, 1, v19
	v_add_nc_u16 v8, v8, v11
	v_add_nc_u16 v9, v10, v9
	v_and_b32_e32 v10, 1, v13
	v_lshrrev_b16 v11, 2, v7
	v_and_b32_e32 v13, 1, v17
	v_add_nc_u16 v8, v8, v12
	;; [unrolled: 5-line block ×3, first 2 shown]
	v_add_nc_u16 v9, v9, v13
	v_and_b32_e32 v10, 1, v16
	v_and_b32_e32 v7, 1, v7
	v_add_nc_u16 v8, v8, v12
	v_add_nc_u16 v9, v9, v11
	;; [unrolled: 1-line block ×4, first 2 shown]
	v_add_f64 v[9:10], v[3:4], 1.0
	v_mul_lo_u16 v7, v12, v11
	v_cmp_eq_u16_sdwa vcc_lo, v11, v12 src0_sel:BYTE_0 src1_sel:BYTE_0
	v_and_b32_sdwa v7, v5, v7 dst_sel:DWORD dst_unused:UNUSED_PAD src0_sel:DWORD src1_sel:BYTE_0
	v_cvt_f64_u32_e32 v[7:8], v7
	v_cndmask_b32_e32 v4, v4, v10, vcc_lo
	v_cndmask_b32_e32 v3, v3, v9, vcc_lo
	v_add_f64 v[1:2], v[1:2], v[7:8]
	s_cbranch_scc1 .LBB3_9
.LBB3_10:
	v_mov_b32_e32 v7, 0
	v_mov_b32_e32 v8, 0x70
	s_cmp_eq_u32 s17, 8
	global_load_dwordx2 v[5:6], v7, s[10:11] offset:72
	s_waitcnt vmcnt(0)
	v_cmp_eq_f64_e32 vcc_lo, v[3:4], v[5:6]
	v_cndmask_b32_e32 v8, 0x74, v8, vcc_lo
	v_cmp_ngt_f64_e32 vcc_lo, v[3:4], v[5:6]
	v_mov_b32_e32 v5, 1
	v_mov_b32_e32 v6, 0xac
	v_cndmask_b32_e32 v3, 0x6c, v8, vcc_lo
	v_add_co_u32 v3, s6, s8, v3
	v_add_co_ci_u32_e64 v4, null, s9, 0, s6
	global_atomic_add v[3:4], v5, off
	global_load_dwordx2 v[3:4], v7, s[10:11] offset:112
	s_waitcnt vmcnt(0)
	v_cmp_eq_f64_e32 vcc_lo, v[1:2], v[3:4]
	v_cndmask_b32_e32 v6, 0xb0, v6, vcc_lo
	v_cmp_ngt_f64_e32 vcc_lo, v[1:2], v[3:4]
	v_mov_b32_e32 v3, 0
	v_mov_b32_e32 v4, 0
	v_cndmask_b32_e32 v1, 0xa8, v6, vcc_lo
	v_add_co_u32 v1, s6, s8, v1
	v_add_co_ci_u32_e64 v2, null, s9, 0, s6
	global_atomic_add v[1:2], v5, off
	v_mov_b32_e32 v1, 0
	v_mov_b32_e32 v2, 0
	s_cbranch_scc1 .LBB3_13
; %bb.11:
	v_mov_b32_e32 v1, 0
	v_mov_b32_e32 v3, 0
	;; [unrolled: 1-line block ×6, first 2 shown]
	s_lshl_b32 s6, s18, 3
	s_add_i32 s7, s17, -8
.LBB3_12:                               ; =>This Inner Loop Header: Depth=1
	v_add_nc_u32_e32 v7, s6, v6
	s_add_i32 s7, s7, -1
	s_clause 0x1
	global_load_ubyte v8, v6, s[22:23]
	global_load_ubyte v7, v7, s[22:23]
	v_add_nc_u32_e32 v6, s18, v6
	s_cmp_lg_u32 s7, 0
	s_waitcnt vmcnt(1)
	v_lshrrev_b16 v9, 7, v8
	v_lshrrev_b16 v10, 6, v8
	;; [unrolled: 1-line block ×7, first 2 shown]
	v_and_b32_e32 v8, 1, v8
	s_waitcnt vmcnt(0)
	v_lshrrev_b16 v17, 7, v7
	v_lshrrev_b16 v18, 6, v7
	v_and_b32_e32 v19, 1, v7
	v_and_b32_e32 v10, 1, v10
	v_add_nc_u16 v8, v8, v9
	v_lshrrev_b16 v9, 5, v7
	v_and_b32_e32 v18, 1, v18
	v_add_nc_u16 v17, v19, v17
	v_and_b32_e32 v11, 1, v11
	v_lshrrev_b16 v19, 4, v7
	v_add_nc_u16 v8, v8, v10
	v_and_b32_e32 v9, 1, v9
	v_add_nc_u16 v10, v17, v18
	v_and_b32_e32 v12, 1, v12
	v_lshrrev_b16 v17, 3, v7
	v_and_b32_e32 v18, 1, v19
	v_add_nc_u16 v8, v8, v11
	v_add_nc_u16 v9, v10, v9
	v_and_b32_e32 v10, 1, v13
	v_lshrrev_b16 v11, 2, v7
	v_and_b32_e32 v13, 1, v17
	v_add_nc_u16 v8, v8, v12
	;; [unrolled: 5-line block ×3, first 2 shown]
	v_add_nc_u16 v9, v9, v13
	v_and_b32_e32 v10, 1, v16
	v_and_b32_e32 v7, 1, v7
	v_add_nc_u16 v8, v8, v12
	v_add_nc_u16 v9, v9, v11
	v_add_nc_u16 v11, v8, v10
	v_add_nc_u16 v12, v9, v7
	v_add_f64 v[9:10], v[3:4], 1.0
	v_mul_lo_u16 v7, v12, v11
	v_cmp_eq_u16_sdwa vcc_lo, v11, v12 src0_sel:BYTE_0 src1_sel:BYTE_0
	v_and_b32_sdwa v7, v5, v7 dst_sel:DWORD dst_unused:UNUSED_PAD src0_sel:DWORD src1_sel:BYTE_0
	v_cvt_f64_u32_e32 v[7:8], v7
	v_cndmask_b32_e32 v4, v4, v10, vcc_lo
	v_cndmask_b32_e32 v3, v3, v9, vcc_lo
	v_add_f64 v[1:2], v[1:2], v[7:8]
	s_cbranch_scc1 .LBB3_12
.LBB3_13:
	v_mov_b32_e32 v7, 0
	v_mov_b32_e32 v8, 0x7c
	s_cmp_eq_u32 s17, 16
	global_load_dwordx2 v[5:6], v7, s[10:11] offset:80
	s_waitcnt vmcnt(0)
	v_cmp_eq_f64_e32 vcc_lo, v[3:4], v[5:6]
	v_cndmask_b32_e32 v8, 0x80, v8, vcc_lo
	v_cmp_ngt_f64_e32 vcc_lo, v[3:4], v[5:6]
	v_mov_b32_e32 v5, 1
	v_mov_b32_e32 v6, 0xb8
	v_cndmask_b32_e32 v3, 0x78, v8, vcc_lo
	v_add_co_u32 v3, s6, s8, v3
	v_add_co_ci_u32_e64 v4, null, s9, 0, s6
	global_atomic_add v[3:4], v5, off
	global_load_dwordx2 v[3:4], v7, s[10:11] offset:120
	s_waitcnt vmcnt(0)
	v_cmp_eq_f64_e32 vcc_lo, v[1:2], v[3:4]
	v_cndmask_b32_e32 v6, 0xbc, v6, vcc_lo
	v_cmp_ngt_f64_e32 vcc_lo, v[1:2], v[3:4]
	v_mov_b32_e32 v3, 0
	v_mov_b32_e32 v4, 0
	v_cndmask_b32_e32 v1, 0xb4, v6, vcc_lo
	v_add_co_u32 v1, s6, s8, v1
	v_add_co_ci_u32_e64 v2, null, s9, 0, s6
	global_atomic_add v[1:2], v5, off
	v_mov_b32_e32 v1, 0
	v_mov_b32_e32 v2, 0
	s_cbranch_scc1 .LBB3_16
; %bb.14:
	v_mov_b32_e32 v1, 0
	v_mov_b32_e32 v3, 0
	;; [unrolled: 1-line block ×6, first 2 shown]
	s_lshl_b32 s6, s18, 4
	s_add_i32 s7, s17, -16
.LBB3_15:                               ; =>This Inner Loop Header: Depth=1
	v_add_nc_u32_e32 v7, s6, v6
	s_add_i32 s7, s7, -1
	s_clause 0x1
	global_load_ubyte v8, v6, s[22:23]
	global_load_ubyte v7, v7, s[22:23]
	v_add_nc_u32_e32 v6, s18, v6
	s_cmp_lg_u32 s7, 0
	s_waitcnt vmcnt(1)
	v_lshrrev_b16 v9, 7, v8
	v_lshrrev_b16 v10, 6, v8
	;; [unrolled: 1-line block ×7, first 2 shown]
	v_and_b32_e32 v8, 1, v8
	s_waitcnt vmcnt(0)
	v_lshrrev_b16 v17, 7, v7
	v_lshrrev_b16 v18, 6, v7
	v_and_b32_e32 v19, 1, v7
	v_and_b32_e32 v10, 1, v10
	v_add_nc_u16 v8, v8, v9
	v_lshrrev_b16 v9, 5, v7
	v_and_b32_e32 v18, 1, v18
	v_add_nc_u16 v17, v19, v17
	v_and_b32_e32 v11, 1, v11
	v_lshrrev_b16 v19, 4, v7
	v_add_nc_u16 v8, v8, v10
	v_and_b32_e32 v9, 1, v9
	v_add_nc_u16 v10, v17, v18
	v_and_b32_e32 v12, 1, v12
	v_lshrrev_b16 v17, 3, v7
	v_and_b32_e32 v18, 1, v19
	v_add_nc_u16 v8, v8, v11
	v_add_nc_u16 v9, v10, v9
	v_and_b32_e32 v10, 1, v13
	v_lshrrev_b16 v11, 2, v7
	v_and_b32_e32 v13, 1, v17
	v_add_nc_u16 v8, v8, v12
	;; [unrolled: 5-line block ×3, first 2 shown]
	v_add_nc_u16 v9, v9, v13
	v_and_b32_e32 v10, 1, v16
	v_and_b32_e32 v7, 1, v7
	v_add_nc_u16 v8, v8, v12
	v_add_nc_u16 v9, v9, v11
	;; [unrolled: 1-line block ×4, first 2 shown]
	v_add_f64 v[9:10], v[3:4], 1.0
	v_mul_lo_u16 v7, v12, v11
	v_cmp_eq_u16_sdwa vcc_lo, v11, v12 src0_sel:BYTE_0 src1_sel:BYTE_0
	v_and_b32_sdwa v7, v5, v7 dst_sel:DWORD dst_unused:UNUSED_PAD src0_sel:DWORD src1_sel:BYTE_0
	v_cvt_f64_u32_e32 v[7:8], v7
	v_cndmask_b32_e32 v4, v4, v10, vcc_lo
	v_cndmask_b32_e32 v3, v3, v9, vcc_lo
	v_add_f64 v[1:2], v[1:2], v[7:8]
	s_cbranch_scc1 .LBB3_15
.LBB3_16:
	v_mov_b32_e32 v7, 0
	v_mov_b32_e32 v8, 0x88
	s_cmp_eq_u32 s17, 32
	global_load_dwordx2 v[5:6], v7, s[10:11] offset:88
	s_waitcnt vmcnt(0)
	v_cmp_eq_f64_e32 vcc_lo, v[3:4], v[5:6]
	v_cndmask_b32_e32 v8, 0x8c, v8, vcc_lo
	v_cmp_ngt_f64_e32 vcc_lo, v[3:4], v[5:6]
	v_mov_b32_e32 v5, 1
	v_mov_b32_e32 v6, 0xc4
	v_cndmask_b32_e32 v3, 0x84, v8, vcc_lo
	v_add_co_u32 v3, s6, s8, v3
	v_add_co_ci_u32_e64 v4, null, s9, 0, s6
	global_atomic_add v[3:4], v5, off
	global_load_dwordx2 v[3:4], v7, s[10:11] offset:128
	s_waitcnt vmcnt(0)
	v_cmp_eq_f64_e32 vcc_lo, v[1:2], v[3:4]
	v_cndmask_b32_e32 v6, 0xc8, v6, vcc_lo
	v_cmp_ngt_f64_e32 vcc_lo, v[1:2], v[3:4]
	v_mov_b32_e32 v3, 0
	v_mov_b32_e32 v4, 0
	v_cndmask_b32_e32 v1, 0xc0, v6, vcc_lo
	v_add_co_u32 v1, s6, s8, v1
	v_add_co_ci_u32_e64 v2, null, s9, 0, s6
	global_atomic_add v[1:2], v5, off
	v_mov_b32_e32 v1, 0
	v_mov_b32_e32 v2, 0
	s_cbranch_scc1 .LBB3_19
; %bb.17:
	v_mov_b32_e32 v3, 0
	v_mov_b32_e32 v1, 0
	;; [unrolled: 1-line block ×6, first 2 shown]
	s_lshl_b32 s6, s18, 5
	s_sub_i32 s7, s17, 32
.LBB3_18:                               ; =>This Inner Loop Header: Depth=1
	v_add_nc_u32_e32 v7, s6, v6
	s_add_i32 s7, s7, -1
	s_clause 0x1
	global_load_ubyte v8, v6, s[22:23]
	global_load_ubyte v7, v7, s[22:23]
	v_add_nc_u32_e32 v6, s18, v6
	s_cmp_lg_u32 s7, 0
	s_waitcnt vmcnt(1)
	v_lshrrev_b16 v9, 7, v8
	v_lshrrev_b16 v10, 6, v8
	;; [unrolled: 1-line block ×7, first 2 shown]
	v_and_b32_e32 v8, 1, v8
	s_waitcnt vmcnt(0)
	v_lshrrev_b16 v17, 7, v7
	v_lshrrev_b16 v18, 6, v7
	v_and_b32_e32 v19, 1, v7
	v_and_b32_e32 v10, 1, v10
	v_add_nc_u16 v8, v8, v9
	v_lshrrev_b16 v9, 5, v7
	v_and_b32_e32 v18, 1, v18
	v_add_nc_u16 v17, v19, v17
	v_and_b32_e32 v11, 1, v11
	v_lshrrev_b16 v19, 4, v7
	v_add_nc_u16 v8, v8, v10
	v_and_b32_e32 v9, 1, v9
	v_add_nc_u16 v10, v17, v18
	v_and_b32_e32 v12, 1, v12
	v_lshrrev_b16 v17, 3, v7
	v_and_b32_e32 v18, 1, v19
	v_add_nc_u16 v8, v8, v11
	v_add_nc_u16 v9, v10, v9
	v_and_b32_e32 v10, 1, v13
	v_lshrrev_b16 v11, 2, v7
	v_and_b32_e32 v13, 1, v17
	v_add_nc_u16 v8, v8, v12
	;; [unrolled: 5-line block ×3, first 2 shown]
	v_add_nc_u16 v9, v9, v13
	v_and_b32_e32 v10, 1, v16
	v_and_b32_e32 v7, 1, v7
	v_add_nc_u16 v8, v8, v12
	v_add_nc_u16 v9, v9, v11
	;; [unrolled: 1-line block ×4, first 2 shown]
	v_add_f64 v[9:10], v[1:2], 1.0
	v_mul_lo_u16 v7, v12, v11
	v_cmp_eq_u16_sdwa vcc_lo, v11, v12 src0_sel:BYTE_0 src1_sel:BYTE_0
	v_and_b32_sdwa v7, v5, v7 dst_sel:DWORD dst_unused:UNUSED_PAD src0_sel:DWORD src1_sel:BYTE_0
	v_cvt_f64_u32_e32 v[7:8], v7
	v_cndmask_b32_e32 v2, v2, v10, vcc_lo
	v_cndmask_b32_e32 v1, v1, v9, vcc_lo
	v_add_f64 v[3:4], v[3:4], v[7:8]
	s_cbranch_scc1 .LBB3_18
.LBB3_19:
	v_mov_b32_e32 v7, 0
	v_mov_b32_e32 v8, 0x94
	global_load_dwordx2 v[5:6], v7, s[10:11] offset:96
	s_waitcnt vmcnt(0)
	v_cmp_eq_f64_e32 vcc_lo, v[1:2], v[5:6]
	v_cndmask_b32_e32 v8, 0x98, v8, vcc_lo
	v_cmp_ngt_f64_e32 vcc_lo, v[1:2], v[5:6]
	v_mov_b32_e32 v5, 1
	v_cndmask_b32_e32 v1, 0x90, v8, vcc_lo
	v_add_co_u32 v1, s6, s8, v1
	v_add_co_ci_u32_e64 v2, null, s9, 0, s6
	s_add_u32 s6, s8, 0xcc
	s_addc_u32 s7, s9, 0
	global_atomic_add v[1:2], v5, off
	global_load_dwordx2 v[5:6], v7, s[10:11] offset:136
	v_mov_b32_e32 v1, s6
	v_mov_b32_e32 v2, s7
	s_mov_b32 s6, exec_lo
	s_waitcnt vmcnt(0)
	v_cmpx_ngt_f64_e32 v[3:4], v[5:6]
	s_xor_b32 s6, exec_lo, s6
	s_cbranch_execz .LBB3_23
; %bb.20:
	s_add_u32 s26, s8, 0xd0
	s_addc_u32 s27, s9, 0
	v_mov_b32_e32 v1, s26
	v_mov_b32_e32 v2, s27
	s_mov_b32 s7, exec_lo
	v_cmpx_neq_f64_e32 v[3:4], v[5:6]
	s_xor_b32 s7, exec_lo, s7
; %bb.21:
	s_add_u32 s26, s8, 0xd4
	s_addc_u32 s27, s9, 0
	v_mov_b32_e32 v1, s26
	v_mov_b32_e32 v2, s27
; %bb.22:
	s_andn2_saveexec_b32 s7, s7
	s_or_b32 exec_lo, exec_lo, s7
.LBB3_23:
	s_andn2_saveexec_b32 s6, s6
	s_or_b32 exec_lo, exec_lo, s6
	s_mov_b32 s6, -1
.LBB3_24:
	s_and_b32 vcc_lo, exec_lo, s4
	s_cbranch_vccz .LBB3_39
.LBB3_25:
	v_mov_b32_e32 v2, 0
	s_cmp_eq_u32 s17, 0
	s_mov_b32 s7, 0
	buffer_store_dword v2, off, s[0:3], 0 offset:252
	buffer_store_dword v2, off, s[0:3], 0 offset:248
	;; [unrolled: 1-line block ×44, first 2 shown]
	s_cbranch_scc1 .LBB3_41
; %bb.26:
	v_add_co_u32 v5, s4, s22, v15
	v_mov_b32_e32 v9, 0
	v_mov_b32_e32 v3, 0
	;; [unrolled: 1-line block ×3, first 2 shown]
	v_add_co_ci_u32_e64 v6, null, s23, 0, s4
	v_mov_b32_e32 v10, 0
	v_mov_b32_e32 v4, 0
	;; [unrolled: 1-line block ×6, first 2 shown]
	s_mov_b32 s6, s17
	s_mov_b32 s19, s7
	s_branch .LBB3_29
.LBB3_27:                               ;   in Loop: Header=BB3_29 Depth=1
	s_or_b32 exec_lo, exec_lo, s4
.LBB3_28:                               ;   in Loop: Header=BB3_29 Depth=1
	s_or_b32 exec_lo, exec_lo, s25
	v_add_co_u32 v7, vcc_lo, v7, 1
	v_add_co_ci_u32_e64 v8, null, 0, v8, vcc_lo
	v_add_co_u32 v11, vcc_lo, v9, v7
	v_add_co_ci_u32_e64 v12, null, v10, v8, vcc_lo
	v_cmp_le_u64_e32 vcc_lo, s[6:7], v[11:12]
	s_or_b32 s19, vcc_lo, s19
	s_andn2_b32 exec_lo, exec_lo, s19
	s_cbranch_execz .LBB3_40
.LBB3_29:                               ; =>This Loop Header: Depth=1
                                        ;     Child Loop BB3_32 Depth 2
	v_add_co_u32 v11, vcc_lo, v7, v9
	v_add_co_ci_u32_e64 v12, null, v8, v10, vcc_lo
	s_mov_b32 s25, exec_lo
	buffer_store_dword v2, off, s[0:3], 0
	buffer_store_dword v2, off, s[0:3], 0 offset:4
	buffer_store_dword v2, off, s[0:3], 0 offset:8
	;; [unrolled: 1-line block ×63, first 2 shown]
	v_cmpx_gt_u64_e64 s[6:7], v[11:12]
	s_cbranch_execz .LBB3_28
; %bb.30:                               ;   in Loop: Header=BB3_29 Depth=1
	v_mad_u64_u32 v[13:14], null, s18, v11, v[5:6]
	s_mov_b32 s27, 0
                                        ; implicit-def: $sgpr26
                                        ; implicit-def: $sgpr29
                                        ; implicit-def: $sgpr28
	v_mov_b32_e32 v11, v14
	v_mad_u64_u32 v[11:12], null, s18, v12, v[11:12]
	v_mov_b32_e32 v14, v11
	s_inst_prefetch 0x1
	s_branch .LBB3_32
	.p2align	6
.LBB3_31:                               ;   in Loop: Header=BB3_32 Depth=2
	s_or_b32 exec_lo, exec_lo, s30
	s_and_b32 s4, exec_lo, s29
	s_or_b32 s27, s4, s27
	s_andn2_b32 s4, s26, exec_lo
	s_and_b32 s26, s28, exec_lo
	s_or_b32 s26, s4, s26
	s_andn2_b32 exec_lo, exec_lo, s27
	s_cbranch_execz .LBB3_34
.LBB3_32:                               ;   Parent Loop BB3_29 Depth=1
                                        ; =>  This Inner Loop Header: Depth=2
	global_load_ubyte v11, v[13:14], off
	s_or_b32 s28, s28, exec_lo
	s_or_b32 s29, s29, exec_lo
	s_waitcnt vmcnt(0)
	v_mov_b32_e32 v18, v11
	buffer_load_ubyte v11, v18, s[0:3], 0 offen
	s_waitcnt vmcnt(0)
	v_and_b32_e32 v11, 1, v11
	v_cmp_eq_u32_e32 vcc_lo, 1, v11
	v_mov_b32_e32 v12, v10
	v_mov_b32_e32 v11, v9
                                        ; implicit-def: $vgpr9_vgpr10
	s_xor_b32 s4, vcc_lo, -1
	s_and_saveexec_b32 s30, s4
	s_cbranch_execz .LBB3_31
; %bb.33:                               ;   in Loop: Header=BB3_32 Depth=2
	v_add_co_u32 v9, vcc_lo, v11, 1
	v_add_co_ci_u32_e64 v10, null, 0, v12, vcc_lo
	v_add_co_u32 v13, s4, v13, s18
	v_add_co_u32 v19, vcc_lo, v7, v9
	v_add_co_ci_u32_e64 v20, null, v8, v10, vcc_lo
	v_add_co_ci_u32_e64 v14, null, 0, v14, s4
	s_andn2_b32 s4, s29, exec_lo
	v_cmp_le_u64_e32 vcc_lo, s[6:7], v[19:20]
	s_andn2_b32 s28, s28, exec_lo
	buffer_store_byte v16, v18, s[0:3], 0 offen
	s_and_b32 s29, vcc_lo, exec_lo
	s_or_b32 s29, s4, s29
	s_branch .LBB3_31
.LBB3_34:                               ;   in Loop: Header=BB3_29 Depth=1
	s_inst_prefetch 0x2
	s_or_b32 exec_lo, exec_lo, s27
	s_and_saveexec_b32 s4, s26
	s_xor_b32 s4, exec_lo, s4
	s_cbranch_execz .LBB3_27
; %bb.35:                               ;   in Loop: Header=BB3_29 Depth=1
	v_cvt_f64_u32_e32 v[9:10], v12
	v_cvt_f64_u32_e32 v[13:14], v11
	v_add_co_u32 v7, vcc_lo, v7, v11
	v_add_co_ci_u32_e64 v8, null, v8, v12, vcc_lo
	v_cmp_gt_u64_e32 vcc_lo, v[11:12], v[1:2]
	v_add_nc_u32_e32 v17, 1, v17
	v_cndmask_b32_e32 v1, v1, v11, vcc_lo
	v_ldexp_f64 v[9:10], v[9:10], 32
	v_add_f64 v[9:10], v[9:10], v[13:14]
	v_add_f64 v[3:4], v[3:4], v[9:10]
	v_mov_b32_e32 v9, 0
	v_mov_b32_e32 v10, 0
	s_branch .LBB3_27
.LBB3_36:
                                        ; implicit-def: $vgpr1_vgpr2
	s_cbranch_execnz .LBB3_66
	s_branch .LBB3_76
.LBB3_37:
                                        ; implicit-def: $vgpr1_vgpr2
	s_cbranch_execnz .LBB3_47
	s_branch .LBB3_65
.LBB3_38:
                                        ; implicit-def: $vgpr1_vgpr2
	s_cbranch_execnz .LBB3_25
.LBB3_39:
	s_branch .LBB3_65
.LBB3_40:
	s_or_b32 exec_lo, exec_lo, s19
	v_cvt_f64_u32_e32 v[5:6], v17
	v_div_scale_f64 v[7:8], null, v[5:6], v[5:6], v[3:4]
	v_div_scale_f64 v[13:14], vcc_lo, v[3:4], v[5:6], v[3:4]
	v_rcp_f64_e32 v[9:10], v[7:8]
	v_fma_f64 v[11:12], -v[7:8], v[9:10], 1.0
	v_fma_f64 v[9:10], v[9:10], v[11:12], v[9:10]
	v_fma_f64 v[11:12], -v[7:8], v[9:10], 1.0
	v_fma_f64 v[9:10], v[9:10], v[11:12], v[9:10]
	v_mul_f64 v[11:12], v[13:14], v[9:10]
	v_fma_f64 v[7:8], -v[7:8], v[11:12], v[13:14]
	v_div_fmas_f64 v[7:8], v[7:8], v[9:10], v[11:12]
	v_div_fixup_f64 v[5:6], v[7:8], v[5:6], v[3:4]
	v_cvt_f64_u32_e32 v[3:4], v1
	s_branch .LBB3_42
.LBB3_41:
	v_mov_b32_e32 v3, 0
	v_mov_b32_e32 v5, 0
	;; [unrolled: 1-line block ×4, first 2 shown]
.LBB3_42:
	v_mov_b32_e32 v7, 0
	v_mov_b32_e32 v8, 0x4c
	s_waitcnt lgkmcnt(0)
	s_add_u32 s6, s8, 0x54
	s_addc_u32 s7, s9, 0
	global_load_dwordx2 v[1:2], v7, s[10:11] offset:48
	s_waitcnt vmcnt(0)
	v_cmp_eq_f64_e32 vcc_lo, v[5:6], v[1:2]
	v_cndmask_b32_e32 v8, 0x50, v8, vcc_lo
	v_cmp_ngt_f64_e32 vcc_lo, v[5:6], v[1:2]
	v_mov_b32_e32 v5, 1
	v_cndmask_b32_e32 v1, 0x48, v8, vcc_lo
	v_add_co_u32 v1, s4, s8, v1
	v_add_co_ci_u32_e64 v2, null, s9, 0, s4
	s_mov_b32 s4, exec_lo
	global_atomic_add v[1:2], v5, off
	global_load_dwordx2 v[5:6], v7, s[10:11] offset:56
	v_mov_b32_e32 v1, s6
	v_mov_b32_e32 v2, s7
	s_waitcnt vmcnt(0)
	v_cmpx_ngt_f64_e32 v[3:4], v[5:6]
	s_xor_b32 s4, exec_lo, s4
	s_cbranch_execz .LBB3_46
; %bb.43:
	s_add_u32 s6, s8, 0x58
	s_addc_u32 s7, s9, 0
	v_mov_b32_e32 v1, s6
	v_mov_b32_e32 v2, s7
	s_mov_b32 s6, exec_lo
	v_cmpx_neq_f64_e32 v[3:4], v[5:6]
	s_xor_b32 s6, exec_lo, s6
; %bb.44:
	s_add_u32 s26, s8, 0x5c
	s_addc_u32 s27, s9, 0
	v_mov_b32_e32 v1, s26
	v_mov_b32_e32 v2, s27
; %bb.45:
	s_andn2_saveexec_b32 s6, s6
	s_or_b32 exec_lo, exec_lo, s6
.LBB3_46:
	s_andn2_saveexec_b32 s4, s4
	s_or_b32 exec_lo, exec_lo, s4
	s_mov_b32 s6, -1
	s_branch .LBB3_65
.LBB3_47:
	s_cmp_eq_u32 s24, 1
                                        ; implicit-def: $vgpr1_vgpr2
	s_cbranch_scc0 .LBB3_65
; %bb.48:
	s_cmp_gt_u32 s16, 1
	s_cbranch_scc1 .LBB3_51
; %bb.49:
	v_mov_b32_e32 v5, 0
	s_cbranch_execz .LBB3_52
; %bb.50:
	v_mov_b32_e32 v2, 0
	v_mov_b32_e32 v0, 0
	;; [unrolled: 1-line block ×4, first 2 shown]
	s_branch .LBB3_55
.LBB3_51:
                                        ; implicit-def: $vgpr5
.LBB3_52:
	global_load_ubyte v1, v15, s[20:21]
	v_mov_b32_e32 v5, 0
	v_add3_u32 v0, s5, s18, v0
	v_mov_b32_e32 v3, 1
	s_add_i32 s4, s16, -1
	s_waitcnt vmcnt(0)
	v_cvt_f64_u32_e32 v[1:2], v1
	s_waitcnt lgkmcnt(0)
	v_cmp_le_f64_e64 s6, s[14:15], v[1:2]
	v_mov_b32_e32 v1, v5
	v_mov_b32_e32 v2, 1
	.p2align	6
.LBB3_53:                               ; =>This Inner Loop Header: Depth=1
	global_load_ubyte v4, v0, s[20:21]
	v_add_nc_u32_e32 v0, s18, v0
	s_add_i32 s4, s4, -1
	s_waitcnt vmcnt(0)
	v_cvt_f64_u32_e32 v[6:7], v4
	v_add_nc_u32_e32 v4, 1, v3
	v_cmp_le_f64_e64 s5, s[14:15], v[6:7]
	v_max_u32_e32 v6, v3, v1
	s_xor_b32 vcc_lo, s6, s5
	s_cmp_lg_u32 s4, 0
	v_cndmask_b32_e64 v7, 0, 1, vcc_lo
	v_cndmask_b32_e64 v3, v4, 1, vcc_lo
	v_cndmask_b32_e32 v1, v1, v6, vcc_lo
	s_mov_b32 s6, s5
	v_add_nc_u32_e32 v2, v2, v7
	s_cbranch_scc1 .LBB3_53
; %bb.54:
	v_cvt_f64_u32_e32 v[2:3], v2
	v_cvt_f64_u32_e32 v[0:1], v1
.LBB3_55:
	v_mov_b32_e32 v4, 0
	s_add_i32 s5, s17, -1
	s_cmp_lt_u32 s5, 2
	s_waitcnt lgkmcnt(0)
	global_load_dwordx2 v[6:7], v4, s[10:11] offset:32
	s_waitcnt vmcnt(0)
	v_cmp_eq_f64_e32 vcc_lo, v[2:3], v[6:7]
	v_cndmask_b32_e64 v8, 56, 52, vcc_lo
	v_cmp_ngt_f64_e32 vcc_lo, v[2:3], v[6:7]
	v_mov_b32_e32 v2, 1
	v_cndmask_b32_e32 v3, 48, v8, vcc_lo
	v_add_co_u32 v6, s4, s8, v3
	v_add_co_ci_u32_e64 v7, null, s9, 0, s4
	global_atomic_add v[6:7], v2, off
	global_load_dwordx2 v[6:7], v4, s[10:11] offset:40
	s_waitcnt vmcnt(0)
	v_cmp_eq_f64_e32 vcc_lo, v[0:1], v[6:7]
	v_cndmask_b32_e64 v3, 0x44, 64, vcc_lo
	v_cmp_ngt_f64_e32 vcc_lo, v[0:1], v[6:7]
	v_cndmask_b32_e32 v0, 60, v3, vcc_lo
	v_add_co_u32 v6, vcc_lo, s22, v15
	v_add_co_ci_u32_e64 v7, null, s23, v5, vcc_lo
	v_add_co_u32 v0, s4, s8, v0
	v_add_co_ci_u32_e64 v1, null, s9, 0, s4
	global_atomic_add v[0:1], v2, off
	v_add_nc_u32_e32 v1, s18, v15
	s_clause 0x1
	global_load_ubyte v0, v[6:7], off
	global_load_ubyte v1, v1, s[22:23]
	s_waitcnt vmcnt(1)
	v_lshrrev_b16 v3, 7, v0
	v_lshrrev_b16 v5, 6, v0
	;; [unrolled: 1-line block ×7, first 2 shown]
	v_and_b32_e32 v0, 1, v0
	s_waitcnt vmcnt(0)
	v_lshrrev_b16 v11, 7, v1
	v_lshrrev_b16 v12, 6, v1
	v_and_b32_e32 v13, 1, v1
	v_lshrrev_b16 v14, 5, v1
	v_and_b32_e32 v5, 1, v5
	v_add_nc_u16 v0, v0, v3
	v_and_b32_e32 v3, 1, v12
	v_add_nc_u16 v11, v13, v11
	v_lshrrev_b16 v12, 4, v1
	v_and_b32_e32 v6, 1, v6
	v_and_b32_e32 v13, 1, v14
	v_add_nc_u16 v0, v0, v5
	v_add_nc_u16 v3, v11, v3
	v_lshrrev_b16 v5, 3, v1
	v_and_b32_e32 v7, 1, v7
	v_and_b32_e32 v11, 1, v12
	v_add_nc_u16 v0, v0, v6
	;; [unrolled: 5-line block ×4, first 2 shown]
	v_add_nc_u16 v3, v3, v5
	v_and_b32_e32 v5, 1, v10
	v_and_b32_e32 v1, 1, v1
	v_add_nc_u16 v0, v0, v7
	v_add_nc_u16 v3, v3, v6
	;; [unrolled: 1-line block ×4, first 2 shown]
	v_cmp_le_u16_sdwa s4, v0, v1 src0_sel:BYTE_0 src1_sel:BYTE_0
	s_cbranch_scc1 .LBB3_59
; %bb.56:
	v_mov_b32_e32 v1, v15
	v_mov_b32_e32 v0, 1
	;; [unrolled: 1-line block ×3, first 2 shown]
	s_add_i32 s5, s17, -2
	s_lshl_b32 s6, s18, 1
                                        ; implicit-def: $sgpr7
.LBB3_57:                               ; =>This Inner Loop Header: Depth=1
	v_add_nc_u32_e32 v3, s18, v1
	v_add_nc_u32_e32 v1, s6, v1
	s_andn2_b32 s7, s7, exec_lo
	s_add_i32 s5, s5, -1
	s_clause 0x1
	global_load_ubyte v6, v3, s[22:23]
	global_load_ubyte v1, v1, s[22:23]
	s_waitcnt vmcnt(1)
	v_lshrrev_b16 v7, 7, v6
	v_lshrrev_b16 v8, 6, v6
	v_lshrrev_b16 v9, 5, v6
	v_lshrrev_b16 v10, 4, v6
	v_lshrrev_b16 v11, 3, v6
	v_lshrrev_b16 v12, 2, v6
	v_lshrrev_b16 v13, 1, v6
	v_and_b32_e32 v6, 1, v6
	s_waitcnt vmcnt(0)
	v_lshrrev_b16 v14, 7, v1
	v_lshrrev_b16 v16, 6, v1
	v_and_b32_e32 v21, 1, v1
	v_lshrrev_b16 v17, 5, v1
	v_and_b32_e32 v8, 1, v8
	v_add_nc_u16 v6, v6, v7
	v_and_b32_e32 v7, 1, v16
	v_add_nc_u16 v14, v21, v14
	v_lshrrev_b16 v18, 4, v1
	v_and_b32_e32 v9, 1, v9
	v_and_b32_e32 v16, 1, v17
	v_add_nc_u16 v6, v6, v8
	v_add_nc_u16 v7, v14, v7
	v_lshrrev_b16 v19, 3, v1
	v_and_b32_e32 v8, 1, v10
	v_and_b32_e32 v10, 1, v18
	v_add_nc_u16 v6, v6, v9
	;; [unrolled: 5-line block ×4, first 2 shown]
	v_add_nc_u16 v7, v7, v11
	v_and_b32_e32 v9, 1, v13
	v_and_b32_e32 v1, 1, v1
	v_add_nc_u16 v6, v6, v8
	v_add_nc_u16 v7, v7, v10
	v_add_nc_u32_e32 v8, 1, v2
	v_add_nc_u16 v6, v6, v9
	v_add_nc_u16 v1, v7, v1
	v_cndmask_b32_e64 v7, 0, 1, s4
	v_max_u32_e32 v9, v2, v4
	v_cmp_le_u16_sdwa s14, v6, v1 src0_sel:BYTE_0 src1_sel:BYTE_0
	v_add_nc_u32_e32 v5, v5, v7
	v_mov_b32_e32 v1, v3
	s_xor_b32 vcc_lo, s4, s14
	s_and_b32 s4, s14, exec_lo
	v_cndmask_b32_e64 v6, 0, 1, vcc_lo
	v_cndmask_b32_e64 v2, v8, 1, vcc_lo
	v_cndmask_b32_e32 v4, v4, v9, vcc_lo
	s_or_b32 s7, s7, s4
	s_cmp_lg_u32 s5, 0
	v_add_nc_u32_e32 v0, v0, v6
	s_mov_b32 s4, s14
	s_cbranch_scc1 .LBB3_57
; %bb.58:
	v_cvt_f64_u32_e32 v[2:3], v0
	v_cvt_f64_u32_e32 v[0:1], v4
	s_mov_b32 s4, s7
	s_branch .LBB3_60
.LBB3_59:
	v_mov_b32_e32 v2, 0
	v_mov_b32_e32 v0, 0
	;; [unrolled: 1-line block ×5, first 2 shown]
.LBB3_60:
	v_mov_b32_e32 v4, 0
	global_load_dwordx2 v[6:7], v4, s[10:11] offset:8
	s_waitcnt vmcnt(0)
	v_cmp_eq_f64_e32 vcc_lo, v[2:3], v[6:7]
	v_cndmask_b32_e64 v8, 20, 16, vcc_lo
	v_cmp_ngt_f64_e32 vcc_lo, v[2:3], v[6:7]
	v_mov_b32_e32 v6, 1
	v_cndmask_b32_e32 v2, 12, v8, vcc_lo
	v_add_co_u32 v2, s5, s8, v2
	v_add_co_ci_u32_e64 v3, null, s9, 0, s5
	global_atomic_add v[2:3], v6, off
	global_load_dwordx2 v[2:3], v4, s[10:11] offset:16
	s_waitcnt vmcnt(0)
	v_cmp_eq_f64_e32 vcc_lo, v[0:1], v[2:3]
	v_cndmask_b32_e64 v7, 32, 28, vcc_lo
	v_cmp_ngt_f64_e32 vcc_lo, v[0:1], v[2:3]
	v_cndmask_b32_e32 v0, 24, v7, vcc_lo
	v_add_co_u32 v0, s5, s8, v0
	v_add_co_ci_u32_e64 v1, null, s9, 0, s5
	global_atomic_add v[0:1], v6, off
	global_load_dwordx2 v[3:4], v4, s[10:11] offset:24
	v_cndmask_b32_e64 v0, 0, 1, s4
	s_add_u32 s4, s8, 36
	s_addc_u32 s5, s9, 0
	v_add_nc_u32_e32 v0, v5, v0
	v_sub_nc_u32_e32 v1, s17, v0
	v_max_u32_e32 v0, v0, v1
	v_mov_b32_e32 v1, s4
	v_mov_b32_e32 v2, s5
	s_mov_b32 s4, exec_lo
	v_cvt_f64_u32_e32 v[5:6], v0
	s_waitcnt vmcnt(0)
	v_cmpx_nlt_f64_e32 v[3:4], v[5:6]
	s_xor_b32 s4, exec_lo, s4
	s_cbranch_execz .LBB3_64
; %bb.61:
	s_add_u32 s6, s8, 40
	s_addc_u32 s7, s9, 0
	v_mov_b32_e32 v1, s6
	v_mov_b32_e32 v2, s7
	s_mov_b32 s5, exec_lo
	v_cmpx_neq_f64_e32 v[3:4], v[5:6]
	s_xor_b32 s5, exec_lo, s5
; %bb.62:
	s_add_u32 s6, s8, 44
	s_addc_u32 s7, s9, 0
	v_mov_b32_e32 v1, s6
	v_mov_b32_e32 v2, s7
; %bb.63:
	s_andn2_saveexec_b32 s5, s5
	s_or_b32 exec_lo, exec_lo, s5
.LBB3_64:
	s_andn2_saveexec_b32 s4, s4
	s_or_b32 exec_lo, exec_lo, s4
	s_mov_b32 s6, -1
.LBB3_65:
	s_branch .LBB3_76
.LBB3_66:
	s_cmp_eq_u32 s16, 0
	s_mov_b32 s17, 0
	s_cbranch_scc1 .LBB3_70
; %bb.67:
	v_add_co_u32 v4, s4, s20, v15
	v_mov_b32_e32 v0, 0
	v_mov_b32_e32 v2, 0
	;; [unrolled: 1-line block ×4, first 2 shown]
	v_add_co_ci_u32_e64 v5, null, s21, 0, s4
	s_mov_b64 s[6:7], 0
	.p2align	6
.LBB3_68:                               ; =>This Inner Loop Header: Depth=1
	global_load_ubyte v10, v[4:5], off
	s_add_u32 s6, s6, 1
	s_addc_u32 s7, s7, 0
	v_cvt_f64_u32_e32 v[8:9], s6
	v_cvt_f64_u32_e32 v[6:7], s7
	v_add_co_u32 v4, s4, v4, s18
	v_add_co_ci_u32_e64 v5, null, 0, v5, s4
	s_cmp_lg_u64 s[16:17], s[6:7]
	v_ldexp_f64 v[6:7], v[6:7], 32
	v_add_f64 v[6:7], v[6:7], v[8:9]
	s_waitcnt vmcnt(0)
	v_cvt_f64_u32_e32 v[10:11], v10
	v_add_f64 v[0:1], v[0:1], v[10:11]
	s_waitcnt lgkmcnt(0)
	v_fma_f64 v[6:7], -s[12:13], v[6:7], v[0:1]
	v_cmp_lt_f64_e64 vcc_lo, v[2:3], |v[6:7]|
	v_and_b32_e32 v8, 0x7fffffff, v7
	v_cndmask_b32_e32 v3, v3, v8, vcc_lo
	v_cndmask_b32_e32 v2, v2, v6, vcc_lo
	s_cbranch_scc1 .LBB3_68
; %bb.69:
	v_cvt_f32_f64_e32 v0, v[2:3]
	s_branch .LBB3_71
.LBB3_70:
	v_mov_b32_e32 v0, 0
.LBB3_71:
	v_mov_b32_e32 v1, 0
	s_mov_b32 s4, exec_lo
	s_waitcnt lgkmcnt(0)
	global_load_dwordx2 v[1:2], v1, s[10:11]
	s_waitcnt vmcnt(0)
	v_cvt_f32_f64_e32 v3, v[1:2]
	v_mov_b32_e32 v1, s8
	v_mov_b32_e32 v2, s9
	v_cmpx_ngt_f32_e32 v0, v3
	s_cbranch_execz .LBB3_75
; %bb.72:
	s_add_u32 s6, s8, 4
	s_addc_u32 s7, s9, 0
	v_mov_b32_e32 v1, s6
	v_mov_b32_e32 v2, s7
	s_mov_b32 s5, exec_lo
	v_cmpx_neq_f32_e32 v0, v3
	s_xor_b32 s5, exec_lo, s5
; %bb.73:
	s_add_u32 s6, s8, 8
	s_addc_u32 s7, s9, 0
	v_mov_b32_e32 v1, s6
	v_mov_b32_e32 v2, s7
; %bb.74:
	s_andn2_saveexec_b32 s5, s5
	s_or_b32 exec_lo, exec_lo, s5
.LBB3_75:
	s_or_b32 exec_lo, exec_lo, s4
	s_mov_b32 s6, -1
.LBB3_76:
	s_and_b32 vcc_lo, exec_lo, s6
	s_cbranch_vccnz .LBB3_78
; %bb.77:
	s_endpgm
.LBB3_78:
	v_mov_b32_e32 v0, 1
	global_atomic_add v[1:2], v0, off
	s_endpgm
	.section	.rodata,"a",@progbits
	.p2align	6, 0x0
	.amdhsa_kernel _Z31binary_statistical_tests_kernelPjPKdddPKhS3_jjjjj
		.amdhsa_group_segment_fixed_size 0
		.amdhsa_private_segment_fixed_size 272
		.amdhsa_kernarg_size 328
		.amdhsa_user_sgpr_count 6
		.amdhsa_user_sgpr_private_segment_buffer 1
		.amdhsa_user_sgpr_dispatch_ptr 0
		.amdhsa_user_sgpr_queue_ptr 0
		.amdhsa_user_sgpr_kernarg_segment_ptr 1
		.amdhsa_user_sgpr_dispatch_id 0
		.amdhsa_user_sgpr_flat_scratch_init 0
		.amdhsa_user_sgpr_private_segment_size 0
		.amdhsa_wavefront_size32 1
		.amdhsa_uses_dynamic_stack 0
		.amdhsa_system_sgpr_private_segment_wavefront_offset 1
		.amdhsa_system_sgpr_workgroup_id_x 1
		.amdhsa_system_sgpr_workgroup_id_y 0
		.amdhsa_system_sgpr_workgroup_id_z 0
		.amdhsa_system_sgpr_workgroup_info 0
		.amdhsa_system_vgpr_workitem_id 0
		.amdhsa_next_free_vgpr 22
		.amdhsa_next_free_sgpr 31
		.amdhsa_reserve_vcc 1
		.amdhsa_reserve_flat_scratch 0
		.amdhsa_float_round_mode_32 0
		.amdhsa_float_round_mode_16_64 0
		.amdhsa_float_denorm_mode_32 3
		.amdhsa_float_denorm_mode_16_64 3
		.amdhsa_dx10_clamp 1
		.amdhsa_ieee_mode 1
		.amdhsa_fp16_overflow 0
		.amdhsa_workgroup_processor_mode 1
		.amdhsa_memory_ordered 1
		.amdhsa_forward_progress 1
		.amdhsa_shared_vgpr_count 0
		.amdhsa_exception_fp_ieee_invalid_op 0
		.amdhsa_exception_fp_denorm_src 0
		.amdhsa_exception_fp_ieee_div_zero 0
		.amdhsa_exception_fp_ieee_overflow 0
		.amdhsa_exception_fp_ieee_underflow 0
		.amdhsa_exception_fp_ieee_inexact 0
		.amdhsa_exception_int_div_zero 0
	.end_amdhsa_kernel
	.text
.Lfunc_end3:
	.size	_Z31binary_statistical_tests_kernelPjPKdddPKhS3_jjjjj, .Lfunc_end3-_Z31binary_statistical_tests_kernelPjPKdddPKhS3_jjjjj
                                        ; -- End function
	.set _Z31binary_statistical_tests_kernelPjPKdddPKhS3_jjjjj.num_vgpr, 22
	.set _Z31binary_statistical_tests_kernelPjPKdddPKhS3_jjjjj.num_agpr, 0
	.set _Z31binary_statistical_tests_kernelPjPKdddPKhS3_jjjjj.numbered_sgpr, 31
	.set _Z31binary_statistical_tests_kernelPjPKdddPKhS3_jjjjj.num_named_barrier, 0
	.set _Z31binary_statistical_tests_kernelPjPKdddPKhS3_jjjjj.private_seg_size, 272
	.set _Z31binary_statistical_tests_kernelPjPKdddPKhS3_jjjjj.uses_vcc, 1
	.set _Z31binary_statistical_tests_kernelPjPKdddPKhS3_jjjjj.uses_flat_scratch, 0
	.set _Z31binary_statistical_tests_kernelPjPKdddPKhS3_jjjjj.has_dyn_sized_stack, 0
	.set _Z31binary_statistical_tests_kernelPjPKdddPKhS3_jjjjj.has_recursion, 0
	.set _Z31binary_statistical_tests_kernelPjPKdddPKhS3_jjjjj.has_indirect_call, 0
	.section	.AMDGPU.csdata,"",@progbits
; Kernel info:
; codeLenInByte = 6660
; TotalNumSgprs: 33
; NumVgprs: 22
; ScratchSize: 272
; MemoryBound: 0
; FloatMode: 240
; IeeeMode: 1
; LDSByteSize: 0 bytes/workgroup (compile time only)
; SGPRBlocks: 0
; VGPRBlocks: 2
; NumSGPRsForWavesPerEU: 33
; NumVGPRsForWavesPerEU: 22
; Occupancy: 16
; WaveLimiterHint : 0
; COMPUTE_PGM_RSRC2:SCRATCH_EN: 1
; COMPUTE_PGM_RSRC2:USER_SGPR: 6
; COMPUTE_PGM_RSRC2:TRAP_HANDLER: 0
; COMPUTE_PGM_RSRC2:TGID_X_EN: 1
; COMPUTE_PGM_RSRC2:TGID_Y_EN: 0
; COMPUTE_PGM_RSRC2:TGID_Z_EN: 0
; COMPUTE_PGM_RSRC2:TIDIG_COMP_CNT: 0
	.text
	.p2alignl 6, 3214868480
	.fill 48, 4, 3214868480
	.section	.AMDGPU.gpr_maximums,"",@progbits
	.set amdgpu.max_num_vgpr, 0
	.set amdgpu.max_num_agpr, 0
	.set amdgpu.max_num_sgpr, 0
	.text
	.type	__hip_cuid_dfe50c576cc47737,@object ; @__hip_cuid_dfe50c576cc47737
	.section	.bss,"aw",@nobits
	.globl	__hip_cuid_dfe50c576cc47737
__hip_cuid_dfe50c576cc47737:
	.byte	0                               ; 0x0
	.size	__hip_cuid_dfe50c576cc47737, 1

	.ident	"AMD clang version 22.0.0git (https://github.com/RadeonOpenCompute/llvm-project roc-7.2.4 26084 f58b06dce1f9c15707c5f808fd002e18c2accf7e)"
	.section	".note.GNU-stack","",@progbits
	.addrsig
	.addrsig_sym __hip_cuid_dfe50c576cc47737
	.amdgpu_metadata
---
amdhsa.kernels:
  - .args:
      - .address_space:  global
        .offset:         0
        .size:           8
        .value_kind:     global_buffer
      - .address_space:  global
        .offset:         8
        .size:           8
        .value_kind:     global_buffer
      - .offset:         16
        .size:           4
        .value_kind:     by_value
      - .offset:         20
        .size:           4
        .value_kind:     by_value
      - .offset:         24
        .size:           4
        .value_kind:     hidden_block_count_x
      - .offset:         28
        .size:           4
        .value_kind:     hidden_block_count_y
      - .offset:         32
        .size:           4
        .value_kind:     hidden_block_count_z
      - .offset:         36
        .size:           2
        .value_kind:     hidden_group_size_x
      - .offset:         38
        .size:           2
        .value_kind:     hidden_group_size_y
      - .offset:         40
        .size:           2
        .value_kind:     hidden_group_size_z
      - .offset:         42
        .size:           2
        .value_kind:     hidden_remainder_x
      - .offset:         44
        .size:           2
        .value_kind:     hidden_remainder_y
      - .offset:         46
        .size:           2
        .value_kind:     hidden_remainder_z
      - .offset:         64
        .size:           8
        .value_kind:     hidden_global_offset_x
      - .offset:         72
        .size:           8
        .value_kind:     hidden_global_offset_y
      - .offset:         80
        .size:           8
        .value_kind:     hidden_global_offset_z
      - .offset:         88
        .size:           2
        .value_kind:     hidden_grid_dims
    .group_segment_fixed_size: 0
    .kernarg_segment_align: 8
    .kernarg_segment_size: 280
    .language:       OpenCL C
    .language_version:
      - 2
      - 0
    .max_flat_workgroup_size: 1024
    .name:           _Z16shuffling_kernelPhPKhjj
    .private_segment_fixed_size: 0
    .sgpr_count:     12
    .sgpr_spill_count: 0
    .symbol:         _Z16shuffling_kernelPhPKhjj.kd
    .uniform_work_group_size: 1
    .uses_dynamic_stack: false
    .vgpr_count:     13
    .vgpr_spill_count: 0
    .wavefront_size: 32
    .workgroup_processor_mode: 1
  - .args:
      - .address_space:  global
        .offset:         0
        .size:           8
        .value_kind:     global_buffer
      - .address_space:  global
        .offset:         8
        .size:           8
        .value_kind:     global_buffer
      - .offset:         16
        .size:           8
        .value_kind:     by_value
      - .offset:         24
        .size:           8
        .value_kind:     by_value
      - .address_space:  global
        .offset:         32
        .size:           8
        .value_kind:     global_buffer
      - .offset:         40
        .size:           4
        .value_kind:     by_value
      - .offset:         44
        .size:           4
        .value_kind:     by_value
      - .offset:         48
        .size:           4
        .value_kind:     by_value
      - .offset:         52
        .size:           4
        .value_kind:     by_value
      - .offset:         56
        .size:           4
        .value_kind:     hidden_block_count_x
      - .offset:         60
        .size:           4
        .value_kind:     hidden_block_count_y
      - .offset:         64
        .size:           4
        .value_kind:     hidden_block_count_z
      - .offset:         68
        .size:           2
        .value_kind:     hidden_group_size_x
      - .offset:         70
        .size:           2
        .value_kind:     hidden_group_size_y
      - .offset:         72
        .size:           2
        .value_kind:     hidden_group_size_z
      - .offset:         74
        .size:           2
        .value_kind:     hidden_remainder_x
      - .offset:         76
        .size:           2
        .value_kind:     hidden_remainder_y
      - .offset:         78
        .size:           2
        .value_kind:     hidden_remainder_z
      - .offset:         96
        .size:           8
        .value_kind:     hidden_global_offset_x
      - .offset:         104
        .size:           8
        .value_kind:     hidden_global_offset_y
      - .offset:         112
        .size:           8
        .value_kind:     hidden_global_offset_z
      - .offset:         120
        .size:           2
        .value_kind:     hidden_grid_dims
    .group_segment_fixed_size: 0
    .kernarg_segment_align: 8
    .kernarg_segment_size: 312
    .language:       OpenCL C
    .language_version:
      - 2
      - 0
    .max_flat_workgroup_size: 1024
    .name:           _Z24statistical_tests_kernelPjPKdddPKhjjjj
    .private_segment_fixed_size: 272
    .sgpr_count:     29
    .sgpr_spill_count: 0
    .symbol:         _Z24statistical_tests_kernelPjPKdddPKhjjjj.kd
    .uniform_work_group_size: 1
    .uses_dynamic_stack: false
    .vgpr_count:     19
    .vgpr_spill_count: 0
    .wavefront_size: 32
    .workgroup_processor_mode: 1
  - .args:
      - .address_space:  global
        .offset:         0
        .size:           8
        .value_kind:     global_buffer
      - .address_space:  global
        .offset:         8
        .size:           8
        .value_kind:     global_buffer
      - .address_space:  global
        .offset:         16
        .size:           8
        .value_kind:     global_buffer
      - .offset:         24
        .size:           4
        .value_kind:     by_value
      - .offset:         28
        .size:           4
        .value_kind:     by_value
      - .offset:         32
        .size:           4
        .value_kind:     by_value
      - .offset:         40
        .size:           4
        .value_kind:     hidden_block_count_x
      - .offset:         44
        .size:           4
        .value_kind:     hidden_block_count_y
      - .offset:         48
        .size:           4
        .value_kind:     hidden_block_count_z
      - .offset:         52
        .size:           2
        .value_kind:     hidden_group_size_x
      - .offset:         54
        .size:           2
        .value_kind:     hidden_group_size_y
      - .offset:         56
        .size:           2
        .value_kind:     hidden_group_size_z
      - .offset:         58
        .size:           2
        .value_kind:     hidden_remainder_x
      - .offset:         60
        .size:           2
        .value_kind:     hidden_remainder_y
      - .offset:         62
        .size:           2
        .value_kind:     hidden_remainder_z
      - .offset:         80
        .size:           8
        .value_kind:     hidden_global_offset_x
      - .offset:         88
        .size:           8
        .value_kind:     hidden_global_offset_y
      - .offset:         96
        .size:           8
        .value_kind:     hidden_global_offset_z
      - .offset:         104
        .size:           2
        .value_kind:     hidden_grid_dims
    .group_segment_fixed_size: 0
    .kernarg_segment_align: 8
    .kernarg_segment_size: 296
    .language:       OpenCL C
    .language_version:
      - 2
      - 0
    .max_flat_workgroup_size: 1024
    .name:           _Z23binary_shuffling_kernelPhS_PKhjjj
    .private_segment_fixed_size: 0
    .sgpr_count:     14
    .sgpr_spill_count: 0
    .symbol:         _Z23binary_shuffling_kernelPhS_PKhjjj.kd
    .uniform_work_group_size: 1
    .uses_dynamic_stack: false
    .vgpr_count:     17
    .vgpr_spill_count: 0
    .wavefront_size: 32
    .workgroup_processor_mode: 1
  - .args:
      - .address_space:  global
        .offset:         0
        .size:           8
        .value_kind:     global_buffer
      - .address_space:  global
        .offset:         8
        .size:           8
        .value_kind:     global_buffer
      - .offset:         16
        .size:           8
        .value_kind:     by_value
      - .offset:         24
        .size:           8
        .value_kind:     by_value
      - .address_space:  global
        .offset:         32
        .size:           8
        .value_kind:     global_buffer
      - .address_space:  global
        .offset:         40
        .size:           8
        .value_kind:     global_buffer
      - .offset:         48
        .size:           4
        .value_kind:     by_value
      - .offset:         52
        .size:           4
        .value_kind:     by_value
      - .offset:         56
        .size:           4
        .value_kind:     by_value
      - .offset:         60
        .size:           4
        .value_kind:     by_value
      - .offset:         64
        .size:           4
        .value_kind:     by_value
      - .offset:         72
        .size:           4
        .value_kind:     hidden_block_count_x
      - .offset:         76
        .size:           4
        .value_kind:     hidden_block_count_y
      - .offset:         80
        .size:           4
        .value_kind:     hidden_block_count_z
      - .offset:         84
        .size:           2
        .value_kind:     hidden_group_size_x
      - .offset:         86
        .size:           2
        .value_kind:     hidden_group_size_y
      - .offset:         88
        .size:           2
        .value_kind:     hidden_group_size_z
      - .offset:         90
        .size:           2
        .value_kind:     hidden_remainder_x
      - .offset:         92
        .size:           2
        .value_kind:     hidden_remainder_y
      - .offset:         94
        .size:           2
        .value_kind:     hidden_remainder_z
      - .offset:         112
        .size:           8
        .value_kind:     hidden_global_offset_x
      - .offset:         120
        .size:           8
        .value_kind:     hidden_global_offset_y
      - .offset:         128
        .size:           8
        .value_kind:     hidden_global_offset_z
      - .offset:         136
        .size:           2
        .value_kind:     hidden_grid_dims
    .group_segment_fixed_size: 0
    .kernarg_segment_align: 8
    .kernarg_segment_size: 328
    .language:       OpenCL C
    .language_version:
      - 2
      - 0
    .max_flat_workgroup_size: 1024
    .name:           _Z31binary_statistical_tests_kernelPjPKdddPKhS3_jjjjj
    .private_segment_fixed_size: 272
    .sgpr_count:     33
    .sgpr_spill_count: 0
    .symbol:         _Z31binary_statistical_tests_kernelPjPKdddPKhS3_jjjjj.kd
    .uniform_work_group_size: 1
    .uses_dynamic_stack: false
    .vgpr_count:     22
    .vgpr_spill_count: 0
    .wavefront_size: 32
    .workgroup_processor_mode: 1
amdhsa.target:   amdgcn-amd-amdhsa--gfx1030
amdhsa.version:
  - 1
  - 2
...

	.end_amdgpu_metadata
